;; amdgpu-corpus repo=ROCm/rocFFT kind=compiled arch=gfx906 opt=O3
	.text
	.amdgcn_target "amdgcn-amd-amdhsa--gfx906"
	.amdhsa_code_object_version 6
	.protected	fft_rtc_back_len3456_factors_6_6_6_4_4_wgs_144_tpt_144_halfLds_dp_ip_CI_unitstride_sbrr_dirReg ; -- Begin function fft_rtc_back_len3456_factors_6_6_6_4_4_wgs_144_tpt_144_halfLds_dp_ip_CI_unitstride_sbrr_dirReg
	.globl	fft_rtc_back_len3456_factors_6_6_6_4_4_wgs_144_tpt_144_halfLds_dp_ip_CI_unitstride_sbrr_dirReg
	.p2align	8
	.type	fft_rtc_back_len3456_factors_6_6_6_4_4_wgs_144_tpt_144_halfLds_dp_ip_CI_unitstride_sbrr_dirReg,@function
fft_rtc_back_len3456_factors_6_6_6_4_4_wgs_144_tpt_144_halfLds_dp_ip_CI_unitstride_sbrr_dirReg: ; @fft_rtc_back_len3456_factors_6_6_6_4_4_wgs_144_tpt_144_halfLds_dp_ip_CI_unitstride_sbrr_dirReg
; %bb.0:
	s_load_dwordx2 s[2:3], s[4:5], 0x50
	s_load_dwordx4 s[8:11], s[4:5], 0x0
	s_load_dwordx2 s[12:13], s[4:5], 0x18
	v_mul_u32_u24_e32 v1, 0x1c8, v0
	v_add_u32_sdwa v5, s6, v1 dst_sel:DWORD dst_unused:UNUSED_PAD src0_sel:DWORD src1_sel:WORD_1
	v_mov_b32_e32 v3, 0
	s_waitcnt lgkmcnt(0)
	v_cmp_lt_u64_e64 s[0:1], s[10:11], 2
	v_mov_b32_e32 v1, 0
	v_mov_b32_e32 v6, v3
	s_and_b64 vcc, exec, s[0:1]
	v_mov_b32_e32 v2, 0
	s_cbranch_vccnz .LBB0_8
; %bb.1:
	s_load_dwordx2 s[0:1], s[4:5], 0x10
	s_add_u32 s6, s12, 8
	s_addc_u32 s7, s13, 0
	v_mov_b32_e32 v1, 0
	v_mov_b32_e32 v2, 0
	s_waitcnt lgkmcnt(0)
	s_add_u32 s14, s0, 8
	s_addc_u32 s15, s1, 0
	s_mov_b64 s[16:17], 1
.LBB0_2:                                ; =>This Inner Loop Header: Depth=1
	s_load_dwordx2 s[18:19], s[14:15], 0x0
                                        ; implicit-def: $vgpr7_vgpr8
	s_waitcnt lgkmcnt(0)
	v_or_b32_e32 v4, s19, v6
	v_cmp_ne_u64_e32 vcc, 0, v[3:4]
	s_and_saveexec_b64 s[0:1], vcc
	s_xor_b64 s[20:21], exec, s[0:1]
	s_cbranch_execz .LBB0_4
; %bb.3:                                ;   in Loop: Header=BB0_2 Depth=1
	v_cvt_f32_u32_e32 v4, s18
	v_cvt_f32_u32_e32 v7, s19
	s_sub_u32 s0, 0, s18
	s_subb_u32 s1, 0, s19
	v_mac_f32_e32 v4, 0x4f800000, v7
	v_rcp_f32_e32 v4, v4
	v_mul_f32_e32 v4, 0x5f7ffffc, v4
	v_mul_f32_e32 v7, 0x2f800000, v4
	v_trunc_f32_e32 v7, v7
	v_mac_f32_e32 v4, 0xcf800000, v7
	v_cvt_u32_f32_e32 v7, v7
	v_cvt_u32_f32_e32 v4, v4
	v_mul_lo_u32 v8, s0, v7
	v_mul_hi_u32 v9, s0, v4
	v_mul_lo_u32 v11, s1, v4
	v_mul_lo_u32 v10, s0, v4
	v_add_u32_e32 v8, v9, v8
	v_add_u32_e32 v8, v8, v11
	v_mul_hi_u32 v9, v4, v10
	v_mul_lo_u32 v11, v4, v8
	v_mul_hi_u32 v13, v4, v8
	v_mul_hi_u32 v12, v7, v10
	v_mul_lo_u32 v10, v7, v10
	v_mul_hi_u32 v14, v7, v8
	v_add_co_u32_e32 v9, vcc, v9, v11
	v_addc_co_u32_e32 v11, vcc, 0, v13, vcc
	v_mul_lo_u32 v8, v7, v8
	v_add_co_u32_e32 v9, vcc, v9, v10
	v_addc_co_u32_e32 v9, vcc, v11, v12, vcc
	v_addc_co_u32_e32 v10, vcc, 0, v14, vcc
	v_add_co_u32_e32 v8, vcc, v9, v8
	v_addc_co_u32_e32 v9, vcc, 0, v10, vcc
	v_add_co_u32_e32 v4, vcc, v4, v8
	v_addc_co_u32_e32 v7, vcc, v7, v9, vcc
	v_mul_lo_u32 v8, s0, v7
	v_mul_hi_u32 v9, s0, v4
	v_mul_lo_u32 v10, s1, v4
	v_mul_lo_u32 v11, s0, v4
	v_add_u32_e32 v8, v9, v8
	v_add_u32_e32 v8, v8, v10
	v_mul_lo_u32 v12, v4, v8
	v_mul_hi_u32 v13, v4, v11
	v_mul_hi_u32 v14, v4, v8
	;; [unrolled: 1-line block ×3, first 2 shown]
	v_mul_lo_u32 v11, v7, v11
	v_mul_hi_u32 v9, v7, v8
	v_add_co_u32_e32 v12, vcc, v13, v12
	v_addc_co_u32_e32 v13, vcc, 0, v14, vcc
	v_mul_lo_u32 v8, v7, v8
	v_add_co_u32_e32 v11, vcc, v12, v11
	v_addc_co_u32_e32 v10, vcc, v13, v10, vcc
	v_addc_co_u32_e32 v9, vcc, 0, v9, vcc
	v_add_co_u32_e32 v8, vcc, v10, v8
	v_addc_co_u32_e32 v9, vcc, 0, v9, vcc
	v_add_co_u32_e32 v4, vcc, v4, v8
	v_addc_co_u32_e32 v9, vcc, v7, v9, vcc
	v_mad_u64_u32 v[7:8], s[0:1], v5, v9, 0
	v_mul_hi_u32 v10, v5, v4
	v_add_co_u32_e32 v11, vcc, v10, v7
	v_addc_co_u32_e32 v12, vcc, 0, v8, vcc
	v_mad_u64_u32 v[7:8], s[0:1], v6, v4, 0
	v_mad_u64_u32 v[9:10], s[0:1], v6, v9, 0
	v_add_co_u32_e32 v4, vcc, v11, v7
	v_addc_co_u32_e32 v4, vcc, v12, v8, vcc
	v_addc_co_u32_e32 v7, vcc, 0, v10, vcc
	v_add_co_u32_e32 v4, vcc, v4, v9
	v_addc_co_u32_e32 v9, vcc, 0, v7, vcc
	v_mul_lo_u32 v10, s19, v4
	v_mul_lo_u32 v11, s18, v9
	v_mad_u64_u32 v[7:8], s[0:1], s18, v4, 0
	v_add3_u32 v8, v8, v11, v10
	v_sub_u32_e32 v10, v6, v8
	v_mov_b32_e32 v11, s19
	v_sub_co_u32_e32 v7, vcc, v5, v7
	v_subb_co_u32_e64 v10, s[0:1], v10, v11, vcc
	v_subrev_co_u32_e64 v11, s[0:1], s18, v7
	v_subbrev_co_u32_e64 v10, s[0:1], 0, v10, s[0:1]
	v_cmp_le_u32_e64 s[0:1], s19, v10
	v_cndmask_b32_e64 v12, 0, -1, s[0:1]
	v_cmp_le_u32_e64 s[0:1], s18, v11
	v_cndmask_b32_e64 v11, 0, -1, s[0:1]
	v_cmp_eq_u32_e64 s[0:1], s19, v10
	v_cndmask_b32_e64 v10, v12, v11, s[0:1]
	v_add_co_u32_e64 v11, s[0:1], 2, v4
	v_addc_co_u32_e64 v12, s[0:1], 0, v9, s[0:1]
	v_add_co_u32_e64 v13, s[0:1], 1, v4
	v_addc_co_u32_e64 v14, s[0:1], 0, v9, s[0:1]
	v_subb_co_u32_e32 v8, vcc, v6, v8, vcc
	v_cmp_ne_u32_e64 s[0:1], 0, v10
	v_cmp_le_u32_e32 vcc, s19, v8
	v_cndmask_b32_e64 v10, v14, v12, s[0:1]
	v_cndmask_b32_e64 v12, 0, -1, vcc
	v_cmp_le_u32_e32 vcc, s18, v7
	v_cndmask_b32_e64 v7, 0, -1, vcc
	v_cmp_eq_u32_e32 vcc, s19, v8
	v_cndmask_b32_e32 v7, v12, v7, vcc
	v_cmp_ne_u32_e32 vcc, 0, v7
	v_cndmask_b32_e64 v7, v13, v11, s[0:1]
	v_cndmask_b32_e32 v8, v9, v10, vcc
	v_cndmask_b32_e32 v7, v4, v7, vcc
.LBB0_4:                                ;   in Loop: Header=BB0_2 Depth=1
	s_andn2_saveexec_b64 s[0:1], s[20:21]
	s_cbranch_execz .LBB0_6
; %bb.5:                                ;   in Loop: Header=BB0_2 Depth=1
	v_cvt_f32_u32_e32 v4, s18
	s_sub_i32 s20, 0, s18
	v_rcp_iflag_f32_e32 v4, v4
	v_mul_f32_e32 v4, 0x4f7ffffe, v4
	v_cvt_u32_f32_e32 v4, v4
	v_mul_lo_u32 v7, s20, v4
	v_mul_hi_u32 v7, v4, v7
	v_add_u32_e32 v4, v4, v7
	v_mul_hi_u32 v4, v5, v4
	v_mul_lo_u32 v7, v4, s18
	v_add_u32_e32 v8, 1, v4
	v_sub_u32_e32 v7, v5, v7
	v_subrev_u32_e32 v9, s18, v7
	v_cmp_le_u32_e32 vcc, s18, v7
	v_cndmask_b32_e32 v7, v7, v9, vcc
	v_cndmask_b32_e32 v4, v4, v8, vcc
	v_add_u32_e32 v8, 1, v4
	v_cmp_le_u32_e32 vcc, s18, v7
	v_cndmask_b32_e32 v7, v4, v8, vcc
	v_mov_b32_e32 v8, v3
.LBB0_6:                                ;   in Loop: Header=BB0_2 Depth=1
	s_or_b64 exec, exec, s[0:1]
	v_mul_lo_u32 v4, v8, s18
	v_mul_lo_u32 v11, v7, s19
	v_mad_u64_u32 v[9:10], s[0:1], v7, s18, 0
	s_load_dwordx2 s[0:1], s[6:7], 0x0
	s_add_u32 s16, s16, 1
	v_add3_u32 v4, v10, v11, v4
	v_sub_co_u32_e32 v5, vcc, v5, v9
	v_subb_co_u32_e32 v4, vcc, v6, v4, vcc
	s_waitcnt lgkmcnt(0)
	v_mul_lo_u32 v4, s0, v4
	v_mul_lo_u32 v6, s1, v5
	v_mad_u64_u32 v[1:2], s[0:1], s0, v5, v[1:2]
	s_addc_u32 s17, s17, 0
	s_add_u32 s6, s6, 8
	v_add3_u32 v2, v6, v2, v4
	v_mov_b32_e32 v4, s10
	v_mov_b32_e32 v5, s11
	s_addc_u32 s7, s7, 0
	v_cmp_ge_u64_e32 vcc, s[16:17], v[4:5]
	s_add_u32 s14, s14, 8
	s_addc_u32 s15, s15, 0
	s_cbranch_vccnz .LBB0_9
; %bb.7:                                ;   in Loop: Header=BB0_2 Depth=1
	v_mov_b32_e32 v5, v7
	v_mov_b32_e32 v6, v8
	s_branch .LBB0_2
.LBB0_8:
	v_mov_b32_e32 v8, v6
	v_mov_b32_e32 v7, v5
.LBB0_9:
	s_lshl_b64 s[0:1], s[10:11], 3
	s_add_u32 s0, s12, s0
	s_addc_u32 s1, s13, s1
	s_load_dwordx2 s[6:7], s[0:1], 0x0
	s_load_dwordx2 s[10:11], s[4:5], 0x20
                                        ; implicit-def: $vgpr50_vgpr51
                                        ; implicit-def: $vgpr86_vgpr87
                                        ; implicit-def: $vgpr58_vgpr59
                                        ; implicit-def: $vgpr30_vgpr31
                                        ; implicit-def: $vgpr78_vgpr79
                                        ; implicit-def: $vgpr82_vgpr83
                                        ; implicit-def: $vgpr38_vgpr39
                                        ; implicit-def: $vgpr26_vgpr27
                                        ; implicit-def: $vgpr46_vgpr47
                                        ; implicit-def: $vgpr10_vgpr11
                                        ; implicit-def: $vgpr22_vgpr23
                                        ; implicit-def: $vgpr14_vgpr15
                                        ; implicit-def: $vgpr18_vgpr19
                                        ; implicit-def: $vgpr66_vgpr67
                                        ; implicit-def: $vgpr54_vgpr55
                                        ; implicit-def: $vgpr62_vgpr63
                                        ; implicit-def: $vgpr42_vgpr43
                                        ; implicit-def: $vgpr70_vgpr71
                                        ; implicit-def: $vgpr34_vgpr35
                                        ; implicit-def: $vgpr94_vgpr95
                                        ; implicit-def: $vgpr90_vgpr91
                                        ; implicit-def: $vgpr74_vgpr75
	s_waitcnt lgkmcnt(0)
	v_mad_u64_u32 v[1:2], s[0:1], s6, v7, v[1:2]
	v_mul_lo_u32 v3, s6, v8
	v_mul_lo_u32 v4, s7, v7
	s_mov_b32 s0, 0x1c71c72
	v_mul_hi_u32 v5, v0, s0
	v_cmp_gt_u64_e32 vcc, s[10:11], v[7:8]
	v_add3_u32 v2, v4, v2, v3
	v_lshlrev_b64 v[98:99], 4, v[1:2]
	v_mul_u32_u24_e32 v3, 0x90, v5
	v_sub_u32_e32 v96, v0, v3
                                        ; implicit-def: $vgpr6_vgpr7
                                        ; implicit-def: $vgpr2_vgpr3
	s_and_saveexec_b64 s[4:5], vcc
	s_cbranch_execz .LBB0_11
; %bb.10:
	v_mov_b32_e32 v97, 0
	v_mov_b32_e32 v0, s3
	v_add_co_u32_e64 v6, s[0:1], s2, v98
	v_addc_co_u32_e64 v7, s[0:1], v0, v99, s[0:1]
	v_lshlrev_b64 v[0:1], 4, v[96:97]
	v_or_b32_e32 v4, 0x900, v96
	v_add_co_u32_e64 v0, s[0:1], v6, v0
	v_addc_co_u32_e64 v1, s[0:1], v7, v1, s[0:1]
	s_movk_i32 s0, 0x2000
	v_add_co_u32_e64 v2, s[0:1], s0, v0
	v_addc_co_u32_e64 v3, s[0:1], 0, v1, s[0:1]
	s_movk_i32 s0, 0x4000
	v_add_co_u32_e64 v12, s[0:1], s0, v0
	v_addc_co_u32_e64 v13, s[0:1], 0, v1, s[0:1]
	s_movk_i32 s0, 0x6000
	v_mov_b32_e32 v5, v97
	v_add_co_u32_e64 v14, s[0:1], s0, v0
	v_lshlrev_b64 v[4:5], 4, v[4:5]
	v_addc_co_u32_e64 v15, s[0:1], 0, v1, s[0:1]
	v_add_co_u32_e64 v100, s[0:1], v6, v4
	v_addc_co_u32_e64 v101, s[0:1], v7, v5, s[0:1]
	s_mov_b32 s0, 0xb000
	v_add_co_u32_e64 v4, s[0:1], s0, v0
	v_addc_co_u32_e64 v5, s[0:1], 0, v1, s[0:1]
	s_movk_i32 s0, 0x5000
	global_load_dwordx4 v[72:75], v[0:1], off
	global_load_dwordx4 v[28:31], v[0:1], off offset:2304
	global_load_dwordx4 v[48:51], v[2:3], off offset:1024
	global_load_dwordx4 v[32:35], v[2:3], off offset:3328
	v_add_co_u32_e64 v2, s[0:1], s0, v0
	v_addc_co_u32_e64 v3, s[0:1], 0, v1, s[0:1]
	s_movk_i32 s0, 0x7000
	v_add_co_u32_e64 v102, s[0:1], s0, v0
	v_addc_co_u32_e64 v103, s[0:1], 0, v1, s[0:1]
	s_mov_b32 s0, 0x9000
	v_add_co_u32_e64 v104, s[0:1], s0, v0
	v_addc_co_u32_e64 v105, s[0:1], 0, v1, s[0:1]
	s_movk_i32 s0, 0x1000
	v_add_co_u32_e64 v106, s[0:1], s0, v0
	v_addc_co_u32_e64 v107, s[0:1], 0, v1, s[0:1]
	s_movk_i32 s0, 0x3000
	v_add_co_u32_e64 v108, s[0:1], s0, v0
	v_addc_co_u32_e64 v109, s[0:1], 0, v1, s[0:1]
	s_mov_b32 s0, 0xa000
	v_add_co_u32_e64 v110, s[0:1], s0, v0
	v_addc_co_u32_e64 v111, s[0:1], 0, v1, s[0:1]
	s_mov_b32 s0, 0xc000
	;; [unrolled: 3-line block ×3, first 2 shown]
	v_add_co_u32_e64 v114, s[0:1], s0, v0
	global_load_dwordx4 v[56:59], v[4:5], off offset:1024
	global_load_dwordx4 v[40:43], v[4:5], off offset:3328
	;; [unrolled: 1-line block ×4, first 2 shown]
	v_addc_co_u32_e64 v115, s[0:1], 0, v1, s[0:1]
	global_load_dwordx4 v[76:79], v[102:103], off offset:1280
	global_load_dwordx4 v[52:55], v[102:103], off offset:3584
	;; [unrolled: 1-line block ×6, first 2 shown]
	global_load_dwordx4 v[92:95], v[100:101], off
	global_load_dwordx4 v[88:91], v[14:15], off offset:3072
	global_load_dwordx4 v[84:87], v[12:13], off offset:2048
	;; [unrolled: 1-line block ×8, first 2 shown]
                                        ; kill: killed $vgpr12 killed $vgpr13
                                        ; kill: killed $vgpr102 killed $vgpr103
                                        ; kill: killed $vgpr114 killed $vgpr115
                                        ; kill: killed $vgpr100 killed $vgpr101
                                        ; kill: killed $vgpr110 killed $vgpr111
                                        ; kill: killed $vgpr108 killed $vgpr109
                                        ; kill: killed $vgpr106 killed $vgpr107
                                        ; kill: killed $vgpr14 killed $vgpr15
                                        ; kill: killed $vgpr104 killed $vgpr105
	global_load_dwordx4 v[12:15], v[112:113], off offset:3840
.LBB0_11:
	s_or_b64 exec, exec, s[4:5]
	s_waitcnt vmcnt(7)
	v_add_f64 v[100:101], v[84:85], v[92:93]
	v_add_f64 v[106:107], v[58:59], v[90:91]
	;; [unrolled: 1-line block ×4, first 2 shown]
	v_add_f64 v[104:105], v[86:87], -v[94:95]
	v_add_f64 v[110:111], v[88:89], -v[56:57]
	;; [unrolled: 1-line block ×3, first 2 shown]
	s_mov_b32 s4, 0xe8584caa
	v_fma_f64 v[72:73], v[100:101], -0.5, v[72:73]
	v_fma_f64 v[106:107], v[106:107], -0.5, v[50:51]
	v_add_f64 v[100:101], v[86:87], v[74:75]
	v_fma_f64 v[108:109], v[108:109], -0.5, v[48:49]
	s_mov_b32 s5, 0xbfebb67a
	s_mov_b32 s1, 0x3febb67a
	;; [unrolled: 1-line block ×3, first 2 shown]
	v_add_f64 v[86:87], v[86:87], v[94:95]
	v_fma_f64 v[114:115], v[104:105], s[4:5], v[72:73]
	v_fma_f64 v[104:105], v[104:105], s[0:1], v[72:73]
	v_fma_f64 v[72:73], v[110:111], s[0:1], v[106:107]
	v_fma_f64 v[106:107], v[110:111], s[4:5], v[106:107]
	v_add_f64 v[94:95], v[94:95], v[100:101]
	v_fma_f64 v[100:101], v[112:113], s[4:5], v[108:109]
	v_add_f64 v[48:49], v[48:49], v[88:89]
	v_add_f64 v[102:103], v[92:93], v[102:103]
	v_fma_f64 v[74:75], v[86:87], -0.5, v[74:75]
	v_add_f64 v[84:85], v[84:85], -v[92:93]
	v_fma_f64 v[86:87], v[112:113], s[0:1], v[108:109]
	v_mul_f64 v[92:93], v[106:107], s[4:5]
	v_mul_f64 v[88:89], v[72:73], s[4:5]
	v_add_f64 v[50:51], v[50:51], v[90:91]
	v_mul_f64 v[90:91], v[100:101], s[0:1]
	v_mul_f64 v[106:107], v[106:107], -0.5
	v_add_f64 v[112:113], v[56:57], v[48:49]
	v_add_f64 v[116:117], v[80:81], v[68:69]
	v_fma_f64 v[108:109], v[84:85], s[0:1], v[74:75]
	v_fma_f64 v[92:93], v[86:87], -0.5, v[92:93]
	v_fma_f64 v[88:89], v[100:101], 0.5, v[88:89]
	v_add_f64 v[50:51], v[58:59], v[50:51]
	v_fma_f64 v[100:101], v[72:73], 0.5, v[90:91]
	v_fma_f64 v[106:107], v[86:87], s[0:1], v[106:107]
	v_add_f64 v[72:73], v[112:113], v[102:103]
	v_add_f64 v[86:87], v[102:103], -v[112:113]
	v_add_f64 v[102:103], v[78:79], v[42:43]
	v_fma_f64 v[110:111], v[84:85], s[4:5], v[74:75]
	v_add_f64 v[84:85], v[104:105], v[92:93]
	v_add_f64 v[90:91], v[104:105], -v[92:93]
	v_add_f64 v[92:93], v[76:77], v[40:41]
	v_add_f64 v[56:57], v[50:51], v[94:95]
	v_add_f64 v[50:51], v[94:95], -v[50:51]
	v_add_f64 v[94:95], v[28:29], v[68:69]
	v_fma_f64 v[28:29], v[116:117], -0.5, v[28:29]
	v_add_f64 v[104:105], v[70:71], -v[82:83]
	v_fma_f64 v[102:103], v[102:103], -0.5, v[34:35]
	v_add_f64 v[112:113], v[76:77], -v[40:41]
	;; [unrolled: 2-line block ×3, first 2 shown]
	v_add_f64 v[74:75], v[114:115], v[88:89]
	v_add_f64 v[88:89], v[114:115], -v[88:89]
	v_add_f64 v[114:115], v[30:31], v[70:71]
	v_add_f64 v[70:71], v[82:83], v[70:71]
	v_fma_f64 v[118:119], v[104:105], s[4:5], v[28:29]
	v_fma_f64 v[104:105], v[104:105], s[0:1], v[28:29]
	;; [unrolled: 1-line block ×5, first 2 shown]
	v_add_f64 v[32:33], v[76:77], v[32:33]
	v_add_f64 v[94:95], v[80:81], v[94:95]
	v_fma_f64 v[30:31], v[70:71], -0.5, v[30:31]
	v_add_f64 v[68:69], v[68:69], -v[80:81]
	v_fma_f64 v[70:71], v[116:117], s[0:1], v[92:93]
	v_add_f64 v[34:35], v[78:79], v[34:35]
	v_mul_f64 v[80:81], v[102:103], s[4:5]
	v_mul_f64 v[78:79], v[112:113], s[0:1]
	v_add_f64 v[40:41], v[40:41], v[32:33]
	v_mul_f64 v[76:77], v[28:29], s[4:5]
	v_add_f64 v[58:59], v[108:109], v[100:101]
	v_add_f64 v[82:83], v[82:83], v[114:115]
	v_mul_f64 v[92:93], v[102:103], -0.5
	v_fma_f64 v[102:103], v[68:69], s[0:1], v[30:31]
	v_fma_f64 v[116:117], v[70:71], -0.5, v[80:81]
	v_fma_f64 v[114:115], v[68:69], s[4:5], v[30:31]
	v_add_f64 v[120:121], v[42:43], v[34:35]
	v_fma_f64 v[122:123], v[28:29], 0.5, v[78:79]
	v_add_f64 v[68:69], v[108:109], -v[100:101]
	v_add_f64 v[28:29], v[94:95], v[40:41]
	s_waitcnt vmcnt(4)
	v_add_f64 v[100:101], v[24:25], v[64:65]
	v_add_f64 v[34:35], v[94:95], -v[40:41]
	s_waitcnt vmcnt(2)
	v_add_f64 v[94:95], v[46:47], v[54:55]
	v_fma_f64 v[112:113], v[112:113], 0.5, v[76:77]
	v_add_f64 v[32:33], v[104:105], v[116:117]
	v_add_f64 v[42:43], v[104:105], -v[116:117]
	v_add_f64 v[104:105], v[44:45], v[52:53]
	v_add_f64 v[48:49], v[110:111], v[106:107]
	v_fma_f64 v[92:93], v[70:71], s[0:1], v[92:93]
	v_add_f64 v[70:71], v[110:111], -v[106:107]
	v_add_f64 v[106:107], v[24:25], v[60:61]
	v_fma_f64 v[60:61], v[100:101], -0.5, v[60:61]
	v_add_f64 v[100:101], v[26:27], -v[66:67]
	v_fma_f64 v[94:95], v[94:95], -0.5, v[38:39]
	v_add_f64 v[108:109], v[52:53], -v[44:45]
	v_add_f64 v[30:31], v[118:119], v[112:113]
	v_add_f64 v[40:41], v[118:119], -v[112:113]
	v_fma_f64 v[104:105], v[104:105], -0.5, v[36:37]
	v_add_f64 v[112:113], v[54:55], -v[46:47]
	v_add_f64 v[110:111], v[26:27], v[62:63]
	v_fma_f64 v[116:117], v[100:101], s[4:5], v[60:61]
	v_fma_f64 v[100:101], v[100:101], s[0:1], v[60:61]
	;; [unrolled: 1-line block ×4, first 2 shown]
	v_add_f64 v[26:27], v[26:27], v[66:67]
	v_add_f64 v[106:107], v[64:65], v[106:107]
	v_fma_f64 v[108:109], v[112:113], s[4:5], v[104:105]
	v_add_f64 v[24:25], v[24:25], -v[64:65]
	v_add_f64 v[36:37], v[36:37], v[52:53]
	v_fma_f64 v[52:53], v[112:113], s[0:1], v[104:105]
	v_add_f64 v[38:39], v[38:39], v[54:55]
	v_mul_f64 v[64:65], v[94:95], s[4:5]
	v_fma_f64 v[26:27], v[26:27], -0.5, v[62:63]
	v_mul_f64 v[62:63], v[60:61], s[4:5]
	v_mul_f64 v[54:55], v[108:109], s[0:1]
	v_mul_f64 v[94:95], v[94:95], -0.5
	v_add_f64 v[76:77], v[82:83], v[120:121]
	v_add_f64 v[78:79], v[102:103], v[122:123]
	;; [unrolled: 1-line block ×3, first 2 shown]
	v_fma_f64 v[112:113], v[52:53], -0.5, v[64:65]
	v_add_f64 v[82:83], v[82:83], -v[120:121]
	v_add_f64 v[44:45], v[44:45], v[36:37]
	v_fma_f64 v[108:109], v[108:109], 0.5, v[62:63]
	v_fma_f64 v[120:121], v[60:61], 0.5, v[54:55]
	v_fma_f64 v[94:95], v[52:53], s[0:1], v[94:95]
	v_add_f64 v[52:53], v[102:103], -v[122:123]
	v_add_f64 v[54:55], v[114:115], -v[92:93]
	v_add_f64 v[92:93], v[20:21], v[16:17]
	s_waitcnt vmcnt(0)
	v_add_f64 v[102:103], v[10:11], v[14:15]
	v_add_f64 v[118:119], v[46:47], v[38:39]
	;; [unrolled: 1-line block ×3, first 2 shown]
	v_add_f64 v[46:47], v[100:101], -v[112:113]
	v_add_f64 v[100:101], v[8:9], v[12:13]
	v_add_f64 v[66:67], v[66:67], v[110:111]
	v_fma_f64 v[104:105], v[24:25], s[0:1], v[26:27]
	v_fma_f64 v[110:111], v[24:25], s[4:5], v[26:27]
	v_add_f64 v[24:25], v[44:45], v[106:107]
	v_add_f64 v[26:27], v[116:117], v[108:109]
	v_add_f64 v[38:39], v[106:107], -v[44:45]
	v_add_f64 v[44:45], v[116:117], -v[108:109]
	v_add_f64 v[106:107], v[4:5], v[16:17]
	v_fma_f64 v[4:5], v[92:93], -0.5, v[4:5]
	v_add_f64 v[92:93], v[18:19], -v[22:23]
	v_fma_f64 v[102:103], v[102:103], -0.5, v[2:3]
	v_add_f64 v[108:109], v[8:9], -v[12:13]
	;; [unrolled: 2-line block ×3, first 2 shown]
	v_add_f64 v[112:113], v[6:7], v[18:19]
	v_add_f64 v[18:19], v[22:23], v[18:19]
	v_add_f64 v[16:17], v[16:17], -v[20:21]
	v_fma_f64 v[122:123], v[92:93], s[4:5], v[4:5]
	v_fma_f64 v[124:125], v[92:93], s[0:1], v[4:5]
	v_fma_f64 v[4:5], v[108:109], s[0:1], v[102:103]
	v_fma_f64 v[92:93], v[108:109], s[4:5], v[102:103]
	v_fma_f64 v[102:103], v[114:115], s[4:5], v[100:101]
	v_add_f64 v[0:1], v[8:9], v[0:1]
	v_fma_f64 v[6:7], v[18:19], -0.5, v[6:7]
	v_add_f64 v[106:107], v[20:21], v[106:107]
	v_fma_f64 v[8:9], v[114:115], s[0:1], v[100:101]
	v_add_f64 v[2:3], v[10:11], v[2:3]
	v_mul_f64 v[18:19], v[4:5], s[4:5]
	v_mul_f64 v[20:21], v[92:93], s[4:5]
	v_mul_f64 v[92:93], v[92:93], -0.5
	v_mul_f64 v[10:11], v[102:103], s[0:1]
	v_fma_f64 v[100:101], v[16:17], s[0:1], v[6:7]
	v_fma_f64 v[16:17], v[16:17], s[4:5], v[6:7]
	v_add_f64 v[6:7], v[12:13], v[0:1]
	v_add_f64 v[22:23], v[22:23], v[112:113]
	v_fma_f64 v[12:13], v[102:103], 0.5, v[18:19]
	v_fma_f64 v[18:19], v[8:9], -0.5, v[20:21]
	v_fma_f64 v[102:103], v[8:9], s[0:1], v[92:93]
	v_fma_f64 v[20:21], v[4:5], 0.5, v[10:11]
	v_add_f64 v[14:15], v[14:15], v[2:3]
	v_add_f64 v[60:61], v[118:119], v[66:67]
	v_add_f64 v[66:67], v[66:67], -v[118:119]
	s_movk_i32 s6, 0xffd8
	v_add_f64 v[2:3], v[122:123], v[12:13]
	v_add_f64 v[8:9], v[122:123], -v[12:13]
	v_mul_u32_u24_e32 v12, 6, v96
	v_add_f64 v[4:5], v[124:125], v[18:19]
	v_add_f64 v[118:119], v[16:17], v[102:103]
	v_add_f64 v[10:11], v[124:125], -v[18:19]
	v_add_f64 v[124:125], v[16:17], -v[102:103]
	v_lshl_add_u32 v102, v12, 3, 0
	v_add_f64 v[62:63], v[104:105], v[120:121]
	v_add_f64 v[0:1], v[106:107], v[6:7]
	v_mad_i32_i24 v97, v96, s6, v102
	v_add_f64 v[64:65], v[110:111], v[94:95]
	v_add_f64 v[92:93], v[104:105], -v[120:121]
	v_add_f64 v[94:95], v[110:111], -v[94:95]
	v_add_f64 v[116:117], v[100:101], v[20:21]
	v_add_f64 v[6:7], v[106:107], -v[6:7]
	v_add_f64 v[122:123], v[100:101], -v[20:21]
	v_add_u32_e32 v113, 0x1000, v97
	v_add_u32_e32 v107, 0x2400, v97
	;; [unrolled: 1-line block ×11, first 2 shown]
	s_movk_i32 s6, 0xab
	v_add_f64 v[114:115], v[22:23], v[14:15]
	v_add_f64 v[120:121], v[22:23], -v[14:15]
	ds_write_b128 v102, v[72:75]
	ds_write_b128 v102, v[84:87] offset:16
	ds_write_b128 v102, v[88:91] offset:32
	;; [unrolled: 1-line block ×11, first 2 shown]
	s_waitcnt lgkmcnt(0)
	s_barrier
	ds_read2_b64 v[4:7], v97 offset1:144
	ds_read2_b64 v[44:47], v113 offset0:64 offset1:208
	ds_read2_b64 v[40:43], v107 offset1:144
	ds_read2_b64 v[36:39], v100 offset0:64 offset1:208
	;; [unrolled: 2-line block ×3, first 2 shown]
	ds_read2_b64 v[0:3], v105 offset0:32 offset1:176
	ds_read2_b64 v[24:27], v101 offset0:96 offset1:240
	;; [unrolled: 1-line block ×6, first 2 shown]
	s_waitcnt lgkmcnt(0)
	s_barrier
	ds_write_b128 v102, v[56:59]
	ds_write_b128 v102, v[48:51] offset:16
	ds_write_b128 v102, v[68:71] offset:32
	;; [unrolled: 1-line block ×11, first 2 shown]
	v_mul_lo_u16_sdwa v48, v96, s6 dst_sel:DWORD dst_unused:UNUSED_PAD src0_sel:BYTE_0 src1_sel:DWORD
	v_lshrrev_b16_e32 v114, 10, v48
	v_mul_lo_u16_e32 v48, 6, v114
	v_sub_u16_e32 v116, v96, v48
	v_mov_b32_e32 v115, 5
	v_mul_u32_u24_sdwa v48, v116, v115 dst_sel:DWORD dst_unused:UNUSED_PAD src0_sel:BYTE_0 src1_sel:DWORD
	v_lshlrev_b32_e32 v84, 4, v48
	s_waitcnt lgkmcnt(0)
	s_barrier
	global_load_dwordx4 v[48:51], v84, s[8:9] offset:16
	global_load_dwordx4 v[52:55], v84, s[8:9]
	v_add_u32_e32 v112, 0x90, v96
	s_mov_b32 s6, 0xaaab
	v_mul_u32_u24_sdwa v56, v112, s6 dst_sel:DWORD dst_unused:UNUSED_PAD src0_sel:WORD_0 src1_sel:DWORD
	v_lshrrev_b32_e32 v117, 18, v56
	v_mul_lo_u16_e32 v56, 6, v117
	v_sub_u16_e32 v118, v112, v56
	v_mul_u32_u24_e32 v56, 5, v118
	v_lshlrev_b32_e32 v85, 4, v56
	global_load_dwordx4 v[56:59], v85, s[8:9]
	global_load_dwordx4 v[60:63], v85, s[8:9] offset:16
	global_load_dwordx4 v[64:67], v84, s[8:9] offset:32
	;; [unrolled: 1-line block ×6, first 2 shown]
	v_add_u32_e32 v104, 0x120, v96
	v_mul_u32_u24_sdwa v88, v104, s6 dst_sel:DWORD dst_unused:UNUSED_PAD src0_sel:WORD_0 src1_sel:DWORD
	v_lshrrev_b32_e32 v119, 18, v88
	v_mul_lo_u16_e32 v88, 6, v119
	v_sub_u16_e32 v120, v104, v88
	global_load_dwordx4 v[84:87], v85, s[8:9] offset:64
	v_add_u32_e32 v102, 0x1b0, v96
	v_mul_u32_u24_e32 v88, 5, v120
	v_lshlrev_b32_e32 v155, 4, v88
	v_mul_u32_u24_sdwa v88, v102, s6 dst_sel:DWORD dst_unused:UNUSED_PAD src0_sel:WORD_0 src1_sel:DWORD
	v_lshrrev_b32_e32 v121, 18, v88
	global_load_dwordx4 v[88:91], v155, s[8:9]
	v_mul_lo_u16_e32 v92, 6, v121
	v_sub_u16_e32 v122, v102, v92
	v_mul_u32_u24_e32 v92, 5, v122
	v_lshlrev_b32_e32 v159, 4, v92
	global_load_dwordx4 v[92:95], v159, s[8:9]
	global_load_dwordx4 v[123:126], v155, s[8:9] offset:16
	global_load_dwordx4 v[127:130], v159, s[8:9] offset:16
	;; [unrolled: 1-line block ×4, first 2 shown]
	ds_read2_b64 v[139:142], v113 offset0:64 offset1:208
	global_load_dwordx4 v[143:146], v155, s[8:9] offset:48
	global_load_dwordx4 v[147:150], v159, s[8:9] offset:48
	ds_read2_b64 v[151:154], v107 offset1:144
	global_load_dwordx4 v[155:158], v155, s[8:9] offset:64
	s_mov_b32 s6, 0xe38f
	global_load_dwordx4 v[159:162], v159, s[8:9] offset:64
	s_waitcnt vmcnt(19) lgkmcnt(0)
	v_mul_f64 v[165:166], v[151:152], v[50:51]
	s_waitcnt vmcnt(18)
	v_mul_f64 v[163:164], v[139:140], v[54:55]
	v_mul_f64 v[54:55], v[44:45], v[54:55]
	s_waitcnt vmcnt(17)
	v_mul_f64 v[167:168], v[141:142], v[58:59]
	v_mul_f64 v[58:59], v[46:47], v[58:59]
	v_fma_f64 v[163:164], v[44:45], v[52:53], v[163:164]
	v_mul_f64 v[44:45], v[40:41], v[50:51]
	v_fma_f64 v[54:55], v[139:140], v[52:53], -v[54:55]
	ds_read2_b64 v[50:53], v100 offset0:64 offset1:208
	v_fma_f64 v[139:140], v[40:41], v[48:49], v[165:166]
	s_waitcnt vmcnt(16)
	v_mul_f64 v[40:41], v[153:154], v[62:63]
	v_fma_f64 v[165:166], v[46:47], v[56:57], v[167:168]
	v_mul_f64 v[62:63], v[42:43], v[62:63]
	s_waitcnt vmcnt(15) lgkmcnt(0)
	v_mul_f64 v[167:168], v[50:51], v[66:67]
	v_fma_f64 v[58:59], v[141:142], v[56:57], -v[58:59]
	v_fma_f64 v[48:49], v[151:152], v[48:49], -v[44:45]
	v_mul_f64 v[56:57], v[36:37], v[66:67]
	s_waitcnt vmcnt(14)
	v_mul_f64 v[66:67], v[52:53], v[70:71]
	ds_read2_b64 v[44:47], v109 offset1:144
	v_fma_f64 v[141:142], v[42:43], v[60:61], v[40:41]
	v_mul_f64 v[40:41], v[38:39], v[70:71]
	s_waitcnt vmcnt(13)
	v_mul_f64 v[70:71], v[32:33], v[74:75]
	v_fma_f64 v[60:61], v[153:154], v[60:61], -v[62:63]
	s_waitcnt lgkmcnt(0)
	v_mul_f64 v[42:43], v[44:45], v[74:75]
	v_fma_f64 v[62:63], v[36:37], v[64:65], v[167:168]
	v_fma_f64 v[50:51], v[50:51], v[64:65], -v[56:57]
	v_fma_f64 v[64:65], v[38:39], v[68:69], v[66:67]
	ds_read2_b64 v[36:39], v108 offset0:64 offset1:208
	s_waitcnt vmcnt(11)
	v_mul_f64 v[56:57], v[46:47], v[82:83]
	v_mul_f64 v[66:67], v[34:35], v[82:83]
	v_fma_f64 v[68:69], v[52:53], v[68:69], -v[40:41]
	v_fma_f64 v[52:53], v[32:33], v[72:73], v[42:43]
	v_fma_f64 v[44:45], v[44:45], v[72:73], -v[70:71]
	s_waitcnt lgkmcnt(0)
	v_mul_f64 v[32:33], v[36:37], v[78:79]
	v_mul_f64 v[70:71], v[28:29], v[78:79]
	ds_read2_b64 v[40:43], v101 offset0:96 offset1:240
	v_fma_f64 v[72:73], v[34:35], v[80:81], v[56:57]
	s_waitcnt vmcnt(10)
	v_mul_f64 v[56:57], v[38:39], v[86:87]
	v_fma_f64 v[46:47], v[46:47], v[80:81], -v[66:67]
	v_mul_f64 v[66:67], v[30:31], v[86:87]
	s_waitcnt vmcnt(9) lgkmcnt(0)
	v_mul_f64 v[74:75], v[40:41], v[90:91]
	v_fma_f64 v[28:29], v[28:29], v[76:77], v[32:33]
	v_fma_f64 v[36:37], v[36:37], v[76:77], -v[70:71]
	s_waitcnt vmcnt(8)
	v_mul_f64 v[76:77], v[42:43], v[94:95]
	v_mul_f64 v[70:71], v[24:25], v[90:91]
	v_fma_f64 v[30:31], v[30:31], v[84:85], v[56:57]
	v_mul_f64 v[56:57], v[26:27], v[94:95]
	ds_read2_b64 v[32:35], v110 offset0:32 offset1:176
	v_fma_f64 v[38:39], v[38:39], v[84:85], -v[66:67]
	v_fma_f64 v[74:75], v[24:25], v[88:89], v[74:75]
	s_waitcnt vmcnt(6)
	v_mul_f64 v[78:79], v[22:23], v[129:130]
	v_fma_f64 v[84:85], v[26:27], v[92:93], v[76:77]
	ds_read2_b64 v[24:27], v106 offset0:96 offset1:240
	s_waitcnt lgkmcnt(1)
	v_mul_f64 v[66:67], v[32:33], v[125:126]
	v_fma_f64 v[40:41], v[40:41], v[88:89], -v[70:71]
	v_mul_f64 v[70:71], v[20:21], v[125:126]
	v_mul_f64 v[76:77], v[34:35], v[129:130]
	v_fma_f64 v[42:43], v[42:43], v[92:93], -v[56:57]
	s_waitcnt vmcnt(5) lgkmcnt(0)
	v_mul_f64 v[56:57], v[24:25], v[133:134]
	s_waitcnt vmcnt(4)
	v_mul_f64 v[82:83], v[26:27], v[137:138]
	v_fma_f64 v[34:35], v[34:35], v[127:128], -v[78:79]
	v_fma_f64 v[80:81], v[20:21], v[123:124], v[66:67]
	v_mul_f64 v[66:67], v[16:17], v[133:134]
	v_fma_f64 v[32:33], v[32:33], v[123:124], -v[70:71]
	v_fma_f64 v[86:87], v[22:23], v[127:128], v[76:77]
	ds_read2_b64 v[20:23], v103 offset0:32 offset1:176
	v_mul_f64 v[70:71], v[18:19], v[137:138]
	v_fma_f64 v[76:77], v[16:17], v[131:132], v[56:57]
	v_fma_f64 v[88:89], v[18:19], v[135:136], v[82:83]
	ds_read2_b64 v[16:19], v111 offset0:96 offset1:240
	s_waitcnt vmcnt(2) lgkmcnt(1)
	v_mul_f64 v[78:79], v[22:23], v[149:150]
	v_mul_f64 v[56:57], v[20:21], v[145:146]
	s_waitcnt vmcnt(1)
	v_mul_f64 v[90:91], v[8:9], v[157:158]
	v_fma_f64 v[24:25], v[24:25], v[131:132], -v[66:67]
	s_waitcnt lgkmcnt(0)
	v_mul_f64 v[82:83], v[16:17], v[157:158]
	s_waitcnt vmcnt(0)
	v_mul_f64 v[92:93], v[18:19], v[161:162]
	v_mul_f64 v[66:67], v[12:13], v[145:146]
	v_fma_f64 v[26:27], v[26:27], v[135:136], -v[70:71]
	v_fma_f64 v[125:126], v[14:15], v[147:148], v[78:79]
	v_mul_f64 v[70:71], v[14:15], v[149:150]
	v_fma_f64 v[94:95], v[12:13], v[143:144], v[56:57]
	v_add_f64 v[12:13], v[139:140], v[52:53]
	v_fma_f64 v[78:79], v[8:9], v[155:156], v[82:83]
	v_add_f64 v[8:9], v[50:51], v[36:37]
	v_fma_f64 v[82:83], v[16:17], v[155:156], -v[90:91]
	v_fma_f64 v[90:91], v[10:11], v[159:160], v[92:93]
	v_mul_f64 v[10:11], v[10:11], v[161:162]
	v_add_f64 v[16:17], v[62:63], v[28:29]
	v_add_f64 v[56:57], v[62:63], -v[28:29]
	v_fma_f64 v[123:124], v[20:21], v[143:144], -v[66:67]
	v_fma_f64 v[127:128], v[22:23], v[147:148], -v[70:71]
	v_fma_f64 v[8:9], v[8:9], -0.5, v[54:55]
	ds_read2_b64 v[20:23], v97 offset1:144
	v_add_f64 v[14:15], v[4:5], v[139:140]
	v_fma_f64 v[4:5], v[12:13], -0.5, v[4:5]
	v_add_f64 v[12:13], v[48:49], -v[44:45]
	v_fma_f64 v[92:93], v[18:19], v[159:160], -v[10:11]
	v_add_f64 v[10:11], v[48:49], v[44:45]
	s_waitcnt lgkmcnt(0)
	v_add_f64 v[48:49], v[20:21], v[48:49]
	v_fma_f64 v[16:17], v[16:17], -0.5, v[163:164]
	v_add_f64 v[66:67], v[50:51], -v[36:37]
	v_fma_f64 v[70:71], v[56:57], s[0:1], v[8:9]
	v_fma_f64 v[8:9], v[56:57], s[4:5], v[8:9]
	;; [unrolled: 1-line block ×4, first 2 shown]
	v_fma_f64 v[10:11], v[10:11], -0.5, v[20:21]
	v_add_f64 v[20:21], v[48:49], v[44:45]
	v_add_f64 v[12:13], v[163:164], v[62:63]
	v_fma_f64 v[44:45], v[66:67], s[4:5], v[16:17]
	v_mul_f64 v[48:49], v[70:71], s[4:5]
	v_add_f64 v[50:51], v[54:55], v[50:51]
	v_fma_f64 v[16:17], v[66:67], s[0:1], v[16:17]
	v_mul_f64 v[54:55], v[8:9], s[4:5]
	v_add_f64 v[14:15], v[14:15], v[52:53]
	v_add_f64 v[4:5], v[139:140], -v[52:53]
	v_mul_f64 v[8:9], v[8:9], -0.5
	v_add_f64 v[12:13], v[12:13], v[28:29]
	v_fma_f64 v[48:49], v[44:45], 0.5, v[48:49]
	v_add_f64 v[36:37], v[50:51], v[36:37]
	v_mul_f64 v[52:53], v[70:71], 0.5
	v_fma_f64 v[50:51], v[16:17], -0.5, v[54:55]
	v_add_f64 v[133:134], v[32:33], -v[123:124]
	v_fma_f64 v[28:29], v[4:5], s[0:1], v[10:11]
	v_fma_f64 v[66:67], v[4:5], s[4:5], v[10:11]
	;; [unrolled: 1-line block ×3, first 2 shown]
	v_add_f64 v[10:11], v[14:15], v[12:13]
	v_add_f64 v[4:5], v[14:15], -v[12:13]
	v_add_f64 v[12:13], v[18:19], v[48:49]
	v_add_f64 v[8:9], v[18:19], -v[48:49]
	v_add_f64 v[18:19], v[60:61], v[46:47]
	v_add_f64 v[16:17], v[129:130], v[50:51]
	v_add_f64 v[14:15], v[129:130], -v[50:51]
	v_add_f64 v[50:51], v[68:69], v[38:39]
	v_fma_f64 v[44:45], v[44:45], s[0:1], v[52:53]
	v_add_f64 v[52:53], v[141:142], v[72:73]
	v_add_f64 v[56:57], v[20:21], v[36:37]
	v_add_f64 v[48:49], v[20:21], -v[36:37]
	v_fma_f64 v[18:19], v[18:19], -0.5, v[22:23]
	v_add_f64 v[22:23], v[22:23], v[60:61]
	v_add_f64 v[36:37], v[60:61], -v[46:47]
	v_add_f64 v[60:61], v[64:65], v[30:31]
	v_fma_f64 v[70:71], v[50:51], -0.5, v[58:59]
	v_add_f64 v[129:130], v[64:65], -v[30:31]
	v_fma_f64 v[20:21], v[52:53], -0.5, v[6:7]
	v_add_f64 v[6:7], v[6:7], v[141:142]
	v_add_f64 v[62:63], v[28:29], v[44:45]
	v_add_f64 v[50:51], v[28:29], -v[44:45]
	v_add_f64 v[52:53], v[66:67], v[54:55]
	v_add_f64 v[54:55], v[66:67], -v[54:55]
	v_fma_f64 v[44:45], v[60:61], -0.5, v[165:166]
	v_add_f64 v[60:61], v[68:69], -v[38:39]
	v_fma_f64 v[66:67], v[129:130], s[0:1], v[70:71]
	v_add_f64 v[28:29], v[141:142], -v[72:73]
	v_add_f64 v[6:7], v[6:7], v[72:73]
	v_fma_f64 v[70:71], v[129:130], s[4:5], v[70:71]
	v_fma_f64 v[72:73], v[36:37], s[4:5], v[20:21]
	;; [unrolled: 1-line block ×3, first 2 shown]
	v_add_f64 v[22:23], v[22:23], v[46:47]
	v_add_f64 v[36:37], v[165:166], v[64:65]
	v_fma_f64 v[46:47], v[60:61], s[4:5], v[44:45]
	v_mul_f64 v[64:65], v[66:67], s[4:5]
	v_add_f64 v[58:59], v[58:59], v[68:69]
	v_fma_f64 v[44:45], v[60:61], s[0:1], v[44:45]
	v_mul_f64 v[60:61], v[70:71], s[4:5]
	v_mul_f64 v[66:67], v[66:67], 0.5
	v_fma_f64 v[68:69], v[28:29], s[0:1], v[18:19]
	v_add_f64 v[30:31], v[36:37], v[30:31]
	v_mul_f64 v[36:37], v[70:71], -0.5
	v_fma_f64 v[64:65], v[46:47], 0.5, v[64:65]
	v_add_f64 v[38:39], v[58:59], v[38:39]
	v_add_f64 v[58:59], v[80:81], v[94:95]
	v_fma_f64 v[28:29], v[28:29], s[4:5], v[18:19]
	v_fma_f64 v[18:19], v[44:45], -0.5, v[60:61]
	v_fma_f64 v[46:47], v[46:47], s[0:1], v[66:67]
	v_add_f64 v[129:130], v[6:7], v[30:31]
	v_fma_f64 v[36:37], v[44:45], s[0:1], v[36:37]
	v_add_f64 v[44:45], v[72:73], v[64:65]
	v_add_f64 v[131:132], v[72:73], -v[64:65]
	v_fma_f64 v[72:73], v[58:59], -0.5, v[0:1]
	v_add_f64 v[58:59], v[22:23], v[38:39]
	v_add_f64 v[60:61], v[22:23], -v[38:39]
	v_add_f64 v[22:23], v[24:25], v[82:83]
	v_add_f64 v[66:67], v[68:69], v[46:47]
	v_add_f64 v[64:65], v[68:69], -v[46:47]
	v_add_f64 v[68:69], v[28:29], v[36:37]
	v_add_f64 v[70:71], v[28:29], -v[36:37]
	;; [unrolled: 2-line block ×3, first 2 shown]
	v_add_f64 v[6:7], v[6:7], -v[30:31]
	v_fma_f64 v[22:23], v[22:23], -0.5, v[40:41]
	v_add_f64 v[30:31], v[20:21], v[18:19]
	v_add_f64 v[135:136], v[20:21], -v[18:19]
	ds_read2_b64 v[18:21], v105 offset0:32 offset1:176
	v_fma_f64 v[46:47], v[133:134], s[4:5], v[72:73]
	v_fma_f64 v[72:73], v[133:134], s[0:1], v[72:73]
	v_fma_f64 v[28:29], v[28:29], -0.5, v[74:75]
	v_add_f64 v[133:134], v[24:25], -v[82:83]
	s_waitcnt lgkmcnt(0)
	v_add_f64 v[38:39], v[18:19], v[32:33]
	v_add_f64 v[32:33], v[32:33], v[123:124]
	v_fma_f64 v[137:138], v[36:37], s[0:1], v[22:23]
	v_fma_f64 v[22:23], v[36:37], s[4:5], v[22:23]
	v_add_f64 v[0:1], v[0:1], v[80:81]
	v_add_f64 v[36:37], v[80:81], -v[94:95]
	v_add_f64 v[24:25], v[40:41], v[24:25]
	v_add_f64 v[38:39], v[38:39], v[123:124]
	v_fma_f64 v[18:19], v[32:33], -0.5, v[18:19]
	v_add_f64 v[32:33], v[74:75], v[76:77]
	v_fma_f64 v[74:75], v[133:134], s[4:5], v[28:29]
	v_fma_f64 v[28:29], v[133:134], s[0:1], v[28:29]
	v_mul_f64 v[80:81], v[22:23], s[4:5]
	v_add_f64 v[0:1], v[0:1], v[94:95]
	v_mul_f64 v[76:77], v[137:138], s[4:5]
	v_mul_f64 v[40:41], v[137:138], 0.5
	v_mul_f64 v[22:23], v[22:23], -0.5
	v_fma_f64 v[94:95], v[36:37], s[0:1], v[18:19]
	v_fma_f64 v[18:19], v[36:37], s[4:5], v[18:19]
	v_add_f64 v[24:25], v[24:25], v[82:83]
	v_fma_f64 v[36:37], v[28:29], -0.5, v[80:81]
	v_add_f64 v[32:33], v[32:33], v[78:79]
	v_fma_f64 v[76:77], v[74:75], 0.5, v[76:77]
	v_fma_f64 v[40:41], v[74:75], s[0:1], v[40:41]
	v_fma_f64 v[22:23], v[28:29], s[0:1], v[22:23]
	s_barrier
	v_add_f64 v[74:75], v[38:39], -v[24:25]
	v_add_f64 v[123:124], v[72:73], v[36:37]
	v_add_f64 v[36:37], v[72:73], -v[36:37]
	v_add_f64 v[72:73], v[38:39], v[24:25]
	v_add_f64 v[24:25], v[26:27], v[92:93]
	;; [unrolled: 1-line block ×3, first 2 shown]
	v_add_f64 v[0:1], v[0:1], -v[32:33]
	v_add_f64 v[32:33], v[46:47], v[76:77]
	v_add_f64 v[46:47], v[46:47], -v[76:77]
	v_add_f64 v[78:79], v[94:95], v[40:41]
	;; [unrolled: 2-line block ×3, first 2 shown]
	v_add_f64 v[40:41], v[34:35], v[127:128]
	v_add_f64 v[80:81], v[18:19], v[22:23]
	v_add_f64 v[82:83], v[18:19], -v[22:23]
	v_add_f64 v[22:23], v[88:89], v[90:91]
	v_add_f64 v[94:95], v[88:89], -v[90:91]
	v_fma_f64 v[24:25], v[24:25], -0.5, v[42:43]
	v_add_f64 v[18:19], v[2:3], v[86:87]
	v_fma_f64 v[2:3], v[38:39], -0.5, v[2:3]
	v_fma_f64 v[38:39], v[40:41], -0.5, v[20:21]
	v_add_f64 v[40:41], v[34:35], -v[127:128]
	v_add_f64 v[20:21], v[20:21], v[34:35]
	v_fma_f64 v[22:23], v[22:23], -0.5, v[84:85]
	v_add_f64 v[34:35], v[26:27], -v[92:93]
	v_fma_f64 v[133:134], v[94:95], s[0:1], v[24:25]
	v_fma_f64 v[24:25], v[94:95], s[4:5], v[24:25]
	v_add_f64 v[26:27], v[42:43], v[26:27]
	v_add_f64 v[18:19], v[18:19], v[125:126]
	v_fma_f64 v[94:95], v[40:41], s[4:5], v[2:3]
	v_fma_f64 v[2:3], v[40:41], s[0:1], v[2:3]
	v_add_f64 v[40:41], v[84:85], v[88:89]
	v_fma_f64 v[84:85], v[34:35], s[4:5], v[22:23]
	v_mul_f64 v[88:89], v[133:134], s[4:5]
	v_fma_f64 v[22:23], v[34:35], s[0:1], v[22:23]
	v_mul_f64 v[34:35], v[24:25], s[4:5]
	v_add_f64 v[86:87], v[86:87], -v[125:126]
	v_add_f64 v[20:21], v[20:21], v[127:128]
	v_mul_f64 v[42:43], v[133:134], 0.5
	v_mul_f64 v[24:25], v[24:25], -0.5
	v_add_f64 v[40:41], v[40:41], v[90:91]
	v_fma_f64 v[88:89], v[84:85], 0.5, v[88:89]
	v_add_f64 v[26:27], v[26:27], v[92:93]
	v_fma_f64 v[34:35], v[22:23], -0.5, v[34:35]
	v_fma_f64 v[125:126], v[86:87], s[0:1], v[38:39]
	v_fma_f64 v[38:39], v[86:87], s[4:5], v[38:39]
	;; [unrolled: 1-line block ×4, first 2 shown]
	v_add_f64 v[24:25], v[18:19], v[40:41]
	v_add_f64 v[18:19], v[18:19], -v[40:41]
	v_add_f64 v[40:41], v[94:95], v[88:89]
	v_add_f64 v[84:85], v[20:21], v[26:27]
	v_add_f64 v[86:87], v[20:21], -v[26:27]
	v_mul_u32_u24_e32 v20, 0x120, v114
	v_mov_b32_e32 v114, 3
	v_add_f64 v[133:134], v[2:3], v[34:35]
	v_lshlrev_b32_sdwa v21, v114, v116 dst_sel:DWORD dst_unused:UNUSED_PAD src0_sel:DWORD src1_sel:BYTE_0
	v_add_f64 v[127:128], v[94:95], -v[88:89]
	v_add_f64 v[2:3], v[2:3], -v[34:35]
	v_add3_u32 v116, 0, v20, v21
	ds_write2_b64 v116, v[10:11], v[12:13] offset1:6
	ds_write2_b64 v116, v[16:17], v[4:5] offset0:12 offset1:18
	ds_write2_b64 v116, v[8:9], v[14:15] offset0:24 offset1:30
	v_mul_u32_u24_e32 v4, 0x120, v117
	v_lshlrev_b32_e32 v5, 3, v118
	v_add3_u32 v117, 0, v4, v5
	v_mul_u32_u24_e32 v4, 0x120, v119
	v_lshlrev_b32_e32 v5, 3, v120
	v_add3_u32 v118, 0, v4, v5
	ds_write2_b64 v117, v[129:130], v[44:45] offset1:6
	ds_write2_b64 v117, v[30:31], v[6:7] offset0:12 offset1:18
	ds_write2_b64 v117, v[131:132], v[135:136] offset0:24 offset1:30
	ds_write2_b64 v118, v[28:29], v[32:33] offset1:6
	ds_write2_b64 v118, v[123:124], v[0:1] offset0:12 offset1:18
	ds_write2_b64 v118, v[46:47], v[36:37] offset0:24 offset1:30
	v_mul_u32_u24_e32 v0, 0x120, v121
	v_lshlrev_b32_e32 v1, 3, v122
	v_add3_u32 v119, 0, v0, v1
	v_add_f64 v[90:91], v[125:126], v[42:43]
	v_add_f64 v[88:89], v[125:126], -v[42:43]
	v_add_f64 v[92:93], v[38:39], v[22:23]
	v_add_f64 v[94:95], v[38:39], -v[22:23]
	ds_write2_b64 v119, v[24:25], v[40:41] offset1:6
	ds_write2_b64 v119, v[133:134], v[18:19] offset0:12 offset1:18
	ds_write2_b64 v119, v[127:128], v[2:3] offset0:24 offset1:30
	s_waitcnt lgkmcnt(0)
	s_barrier
	ds_read2_b64 v[4:7], v97 offset1:144
	ds_read2_b64 v[44:47], v113 offset0:64 offset1:208
	ds_read2_b64 v[40:43], v107 offset1:144
	ds_read2_b64 v[36:39], v100 offset0:64 offset1:208
	;; [unrolled: 2-line block ×3, first 2 shown]
	ds_read2_b64 v[0:3], v105 offset0:32 offset1:176
	ds_read2_b64 v[24:27], v101 offset0:96 offset1:240
	;; [unrolled: 1-line block ×6, first 2 shown]
	s_waitcnt lgkmcnt(0)
	s_barrier
	ds_write2_b64 v116, v[56:57], v[62:63] offset1:6
	ds_write2_b64 v116, v[52:53], v[48:49] offset0:12 offset1:18
	ds_write2_b64 v116, v[50:51], v[54:55] offset0:24 offset1:30
	ds_write2_b64 v117, v[58:59], v[66:67] offset1:6
	ds_write2_b64 v117, v[68:69], v[60:61] offset0:12 offset1:18
	ds_write2_b64 v117, v[64:65], v[70:71] offset0:24 offset1:30
	;; [unrolled: 3-line block ×4, first 2 shown]
	v_mov_b32_e32 v48, 57
	v_mul_lo_u16_sdwa v48, v96, v48 dst_sel:DWORD dst_unused:UNUSED_PAD src0_sel:BYTE_0 src1_sel:DWORD
	v_lshrrev_b16_e32 v119, 11, v48
	v_mul_lo_u16_e32 v48, 36, v119
	v_sub_u16_e32 v120, v96, v48
	v_mul_u32_u24_sdwa v48, v120, v115 dst_sel:DWORD dst_unused:UNUSED_PAD src0_sel:BYTE_0 src1_sel:DWORD
	v_lshlrev_b32_e32 v88, 4, v48
	s_waitcnt lgkmcnt(0)
	s_barrier
	global_load_dwordx4 v[48:51], v88, s[8:9] offset:496
	global_load_dwordx4 v[52:55], v88, s[8:9] offset:480
	v_mul_u32_u24_sdwa v56, v112, s6 dst_sel:DWORD dst_unused:UNUSED_PAD src0_sel:WORD_0 src1_sel:DWORD
	v_lshrrev_b32_e32 v115, 21, v56
	v_mul_lo_u16_e32 v56, 36, v115
	v_sub_u16_e32 v116, v112, v56
	v_mul_u32_u24_e32 v56, 5, v116
	v_lshlrev_b32_e32 v89, 4, v56
	global_load_dwordx4 v[56:59], v89, s[8:9] offset:480
	global_load_dwordx4 v[60:63], v89, s[8:9] offset:496
	global_load_dwordx4 v[64:67], v88, s[8:9] offset:512
	global_load_dwordx4 v[68:71], v89, s[8:9] offset:512
	global_load_dwordx4 v[72:75], v88, s[8:9] offset:528
	global_load_dwordx4 v[76:79], v89, s[8:9] offset:528
	global_load_dwordx4 v[80:83], v88, s[8:9] offset:544
	global_load_dwordx4 v[84:87], v89, s[8:9] offset:544
	v_mul_u32_u24_sdwa v88, v104, s6 dst_sel:DWORD dst_unused:UNUSED_PAD src0_sel:WORD_0 src1_sel:DWORD
	v_lshrrev_b32_e32 v117, 21, v88
	v_mul_lo_u16_e32 v88, 36, v117
	v_sub_u16_e32 v118, v104, v88
	v_mul_u32_u24_e32 v88, 5, v118
	v_lshlrev_b32_e32 v155, 4, v88
	v_mul_u32_u24_sdwa v88, v102, s6 dst_sel:DWORD dst_unused:UNUSED_PAD src0_sel:WORD_0 src1_sel:DWORD
	v_lshrrev_b32_e32 v121, 21, v88
	v_mul_lo_u16_e32 v92, 36, v121
	global_load_dwordx4 v[88:91], v155, s[8:9] offset:480
	v_sub_u16_e32 v122, v102, v92
	v_mul_u32_u24_e32 v92, 5, v122
	v_lshlrev_b32_e32 v159, 4, v92
	global_load_dwordx4 v[92:95], v159, s[8:9] offset:480
	global_load_dwordx4 v[123:126], v155, s[8:9] offset:496
	;; [unrolled: 1-line block ×5, first 2 shown]
	ds_read2_b64 v[139:142], v113 offset0:64 offset1:208
	global_load_dwordx4 v[143:146], v155, s[8:9] offset:528
	global_load_dwordx4 v[147:150], v159, s[8:9] offset:528
	ds_read2_b64 v[151:154], v107 offset1:144
	global_load_dwordx4 v[155:158], v155, s[8:9] offset:544
	v_lshl_add_u32 v113, v96, 3, 0
	global_load_dwordx4 v[159:162], v159, s[8:9] offset:544
	s_waitcnt vmcnt(19) lgkmcnt(0)
	v_mul_f64 v[165:166], v[151:152], v[50:51]
	s_waitcnt vmcnt(18)
	v_mul_f64 v[163:164], v[139:140], v[54:55]
	v_mul_f64 v[54:55], v[44:45], v[54:55]
	s_waitcnt vmcnt(17)
	v_mul_f64 v[167:168], v[141:142], v[58:59]
	v_mul_f64 v[58:59], v[46:47], v[58:59]
	v_fma_f64 v[163:164], v[44:45], v[52:53], v[163:164]
	v_mul_f64 v[44:45], v[40:41], v[50:51]
	v_fma_f64 v[54:55], v[139:140], v[52:53], -v[54:55]
	ds_read2_b64 v[50:53], v100 offset0:64 offset1:208
	v_fma_f64 v[139:140], v[40:41], v[48:49], v[165:166]
	s_waitcnt vmcnt(16)
	v_mul_f64 v[40:41], v[153:154], v[62:63]
	v_fma_f64 v[165:166], v[46:47], v[56:57], v[167:168]
	v_fma_f64 v[141:142], v[141:142], v[56:57], -v[58:59]
	s_waitcnt vmcnt(15)
	v_mul_f64 v[56:57], v[36:37], v[66:67]
	v_fma_f64 v[48:49], v[151:152], v[48:49], -v[44:45]
	ds_read2_b64 v[44:47], v109 offset1:144
	v_mul_f64 v[62:63], v[42:43], v[62:63]
	s_waitcnt lgkmcnt(1)
	v_mul_f64 v[167:168], v[50:51], v[66:67]
	s_waitcnt vmcnt(14)
	v_mul_f64 v[58:59], v[52:53], v[70:71]
	v_fma_f64 v[66:67], v[42:43], v[60:61], v[40:41]
	v_mul_f64 v[40:41], v[38:39], v[70:71]
	s_waitcnt vmcnt(13) lgkmcnt(0)
	v_mul_f64 v[42:43], v[44:45], v[74:75]
	v_mul_f64 v[70:71], v[32:33], v[74:75]
	v_fma_f64 v[50:51], v[50:51], v[64:65], -v[56:57]
	s_waitcnt vmcnt(12)
	v_mul_f64 v[56:57], v[46:47], v[78:79]
	v_fma_f64 v[60:61], v[153:154], v[60:61], -v[62:63]
	v_fma_f64 v[62:63], v[36:37], v[64:65], v[167:168]
	v_fma_f64 v[64:65], v[38:39], v[68:69], v[58:59]
	ds_read2_b64 v[36:39], v108 offset0:64 offset1:208
	v_mul_f64 v[58:59], v[34:35], v[78:79]
	v_fma_f64 v[68:69], v[52:53], v[68:69], -v[40:41]
	v_fma_f64 v[52:53], v[32:33], v[72:73], v[42:43]
	ds_read2_b64 v[40:43], v101 offset0:96 offset1:240
	v_fma_f64 v[44:45], v[44:45], v[72:73], -v[70:71]
	v_fma_f64 v[72:73], v[34:35], v[76:77], v[56:57]
	s_waitcnt vmcnt(10) lgkmcnt(1)
	v_mul_f64 v[56:57], v[38:39], v[86:87]
	v_mul_f64 v[32:33], v[36:37], v[82:83]
	;; [unrolled: 1-line block ×3, first 2 shown]
	v_fma_f64 v[46:47], v[46:47], v[76:77], -v[58:59]
	v_mul_f64 v[58:59], v[30:31], v[86:87]
	s_waitcnt vmcnt(9) lgkmcnt(0)
	v_mul_f64 v[74:75], v[40:41], v[90:91]
	s_waitcnt vmcnt(8)
	v_mul_f64 v[76:77], v[42:43], v[94:95]
	v_fma_f64 v[30:31], v[30:31], v[84:85], v[56:57]
	v_mul_f64 v[56:57], v[26:27], v[94:95]
	v_fma_f64 v[28:29], v[28:29], v[80:81], v[32:33]
	v_fma_f64 v[36:37], v[36:37], v[80:81], -v[70:71]
	v_mul_f64 v[70:71], v[24:25], v[90:91]
	ds_read2_b64 v[32:35], v110 offset0:32 offset1:176
	v_fma_f64 v[38:39], v[38:39], v[84:85], -v[58:59]
	v_fma_f64 v[74:75], v[24:25], v[88:89], v[74:75]
	v_fma_f64 v[84:85], v[26:27], v[92:93], v[76:77]
	ds_read2_b64 v[24:27], v106 offset0:96 offset1:240
	s_waitcnt vmcnt(6)
	v_mul_f64 v[76:77], v[22:23], v[129:130]
	s_waitcnt lgkmcnt(1)
	v_mul_f64 v[58:59], v[32:33], v[125:126]
	v_fma_f64 v[42:43], v[42:43], v[92:93], -v[56:57]
	v_fma_f64 v[78:79], v[40:41], v[88:89], -v[70:71]
	s_waitcnt vmcnt(5) lgkmcnt(0)
	v_mul_f64 v[56:57], v[24:25], v[133:134]
	s_waitcnt vmcnt(4)
	v_mul_f64 v[82:83], v[26:27], v[137:138]
	v_mul_f64 v[70:71], v[34:35], v[129:130]
	;; [unrolled: 1-line block ×3, first 2 shown]
	v_fma_f64 v[88:89], v[34:35], v[127:128], -v[76:77]
	v_mul_f64 v[34:35], v[18:19], v[137:138]
	v_fma_f64 v[80:81], v[20:21], v[123:124], v[58:59]
	v_mul_f64 v[58:59], v[16:17], v[133:134]
	v_fma_f64 v[76:77], v[16:17], v[131:132], v[56:57]
	v_fma_f64 v[90:91], v[18:19], v[135:136], v[82:83]
	ds_read2_b64 v[16:19], v111 offset0:96 offset1:240
	v_fma_f64 v[86:87], v[22:23], v[127:128], v[70:71]
	ds_read2_b64 v[20:23], v103 offset0:32 offset1:176
	v_fma_f64 v[92:93], v[26:27], v[135:136], -v[34:35]
	s_waitcnt vmcnt(2)
	v_mul_f64 v[26:27], v[14:15], v[149:150]
	s_waitcnt vmcnt(1) lgkmcnt(1)
	v_mul_f64 v[34:35], v[16:17], v[157:158]
	v_fma_f64 v[32:33], v[32:33], v[123:124], -v[40:41]
	s_waitcnt lgkmcnt(0)
	v_mul_f64 v[40:41], v[20:21], v[145:146]
	v_mul_f64 v[70:71], v[8:9], v[157:158]
	s_waitcnt vmcnt(0)
	v_mul_f64 v[82:83], v[18:19], v[161:162]
	v_fma_f64 v[24:25], v[24:25], v[131:132], -v[58:59]
	v_mul_f64 v[56:57], v[12:13], v[145:146]
	v_fma_f64 v[127:128], v[22:23], v[147:148], -v[26:27]
	v_fma_f64 v[26:27], v[8:9], v[155:156], v[34:35]
	v_add_f64 v[8:9], v[50:51], v[36:37]
	v_mul_f64 v[58:59], v[22:23], v[149:150]
	v_fma_f64 v[94:95], v[12:13], v[143:144], v[40:41]
	v_add_f64 v[12:13], v[139:140], v[52:53]
	v_fma_f64 v[129:130], v[16:17], v[155:156], -v[70:71]
	v_fma_f64 v[131:132], v[10:11], v[159:160], v[82:83]
	v_mul_f64 v[10:11], v[10:11], v[161:162]
	v_add_f64 v[16:17], v[4:5], v[139:140]
	v_add_f64 v[22:23], v[62:63], v[28:29]
	v_add_f64 v[34:35], v[62:63], -v[28:29]
	v_fma_f64 v[8:9], v[8:9], -0.5, v[54:55]
	v_fma_f64 v[125:126], v[14:15], v[147:148], v[58:59]
	v_fma_f64 v[4:5], v[12:13], -0.5, v[4:5]
	ds_read2_b64 v[12:15], v97 offset1:144
	v_fma_f64 v[123:124], v[20:21], v[143:144], -v[56:57]
	v_add_f64 v[20:21], v[48:49], -v[44:45]
	v_fma_f64 v[133:134], v[18:19], v[159:160], -v[10:11]
	v_add_f64 v[10:11], v[16:17], v[52:53]
	v_add_f64 v[16:17], v[48:49], v[44:45]
	s_waitcnt lgkmcnt(0)
	v_add_f64 v[40:41], v[12:13], v[48:49]
	v_fma_f64 v[22:23], v[22:23], -0.5, v[163:164]
	v_add_f64 v[48:49], v[50:51], -v[36:37]
	v_fma_f64 v[56:57], v[34:35], s[0:1], v[8:9]
	v_fma_f64 v[8:9], v[34:35], s[4:5], v[8:9]
	;; [unrolled: 1-line block ×4, first 2 shown]
	v_add_f64 v[4:5], v[139:140], -v[52:53]
	v_fma_f64 v[12:13], v[16:17], -0.5, v[12:13]
	v_add_f64 v[16:17], v[40:41], v[44:45]
	v_add_f64 v[34:35], v[163:164], v[62:63]
	v_fma_f64 v[40:41], v[48:49], s[4:5], v[22:23]
	v_mul_f64 v[44:45], v[56:57], s[4:5]
	v_fma_f64 v[22:23], v[48:49], s[0:1], v[22:23]
	v_mul_f64 v[52:53], v[8:9], s[4:5]
	v_add_f64 v[50:51], v[54:55], v[50:51]
	v_mul_f64 v[48:49], v[56:57], 0.5
	v_mul_f64 v[8:9], v[8:9], -0.5
	v_add_f64 v[28:29], v[34:35], v[28:29]
	v_fma_f64 v[56:57], v[4:5], s[0:1], v[12:13]
	v_fma_f64 v[44:45], v[40:41], 0.5, v[44:45]
	v_fma_f64 v[58:59], v[4:5], s[4:5], v[12:13]
	v_fma_f64 v[12:13], v[22:23], -0.5, v[52:53]
	v_add_f64 v[50:51], v[50:51], v[36:37]
	v_fma_f64 v[40:41], v[40:41], s[0:1], v[48:49]
	v_fma_f64 v[22:23], v[22:23], s[0:1], v[8:9]
	v_add_f64 v[34:35], v[10:11], v[28:29]
	v_add_f64 v[4:5], v[10:11], -v[28:29]
	v_add_f64 v[36:37], v[18:19], v[44:45]
	v_add_f64 v[28:29], v[66:67], v[72:73]
	v_add_f64 v[8:9], v[18:19], -v[44:45]
	v_add_f64 v[18:19], v[60:61], v[46:47]
	;; [unrolled: 3-line block ×3, first 2 shown]
	v_add_f64 v[48:49], v[16:17], v[50:51]
	v_add_f64 v[50:51], v[16:17], -v[50:51]
	v_fma_f64 v[16:17], v[28:29], -0.5, v[6:7]
	v_add_f64 v[6:7], v[6:7], v[66:67]
	v_fma_f64 v[18:19], v[18:19], -0.5, v[14:15]
	v_add_f64 v[14:15], v[14:15], v[60:61]
	v_add_f64 v[28:29], v[60:61], -v[46:47]
	v_add_f64 v[44:45], v[64:65], v[30:31]
	v_fma_f64 v[20:21], v[20:21], -0.5, v[141:142]
	v_add_f64 v[60:61], v[64:65], -v[30:31]
	v_add_f64 v[54:55], v[56:57], v[40:41]
	v_add_f64 v[52:53], v[56:57], -v[40:41]
	v_add_f64 v[40:41], v[66:67], -v[72:73]
	v_add_f64 v[56:57], v[58:59], v[22:23]
	v_add_f64 v[58:59], v[58:59], -v[22:23]
	v_fma_f64 v[22:23], v[44:45], -0.5, v[165:166]
	v_add_f64 v[44:45], v[68:69], -v[38:39]
	v_add_f64 v[66:67], v[6:7], v[72:73]
	v_fma_f64 v[6:7], v[60:61], s[4:5], v[20:21]
	v_fma_f64 v[62:63], v[60:61], s[0:1], v[20:21]
	;; [unrolled: 1-line block ×4, first 2 shown]
	v_add_f64 v[46:47], v[14:15], v[46:47]
	v_add_f64 v[14:15], v[165:166], v[64:65]
	v_fma_f64 v[16:17], v[44:45], s[4:5], v[22:23]
	v_fma_f64 v[22:23], v[44:45], s[0:1], v[22:23]
	v_mul_f64 v[44:45], v[6:7], s[4:5]
	v_mul_f64 v[60:61], v[62:63], s[4:5]
	v_add_f64 v[64:65], v[141:142], v[68:69]
	v_fma_f64 v[68:69], v[40:41], s[0:1], v[18:19]
	v_mul_f64 v[62:63], v[62:63], 0.5
	v_add_f64 v[30:31], v[14:15], v[30:31]
	v_mul_f64 v[14:15], v[6:7], -0.5
	v_fma_f64 v[70:71], v[40:41], s[4:5], v[18:19]
	v_fma_f64 v[40:41], v[22:23], -0.5, v[44:45]
	v_fma_f64 v[60:61], v[16:17], 0.5, v[60:61]
	v_add_f64 v[38:39], v[64:65], v[38:39]
	v_add_f64 v[44:45], v[80:81], v[94:95]
	v_fma_f64 v[64:65], v[16:17], s[0:1], v[62:63]
	v_add_f64 v[6:7], v[66:67], v[30:31]
	v_fma_f64 v[72:73], v[22:23], s[0:1], v[14:15]
	v_add_f64 v[16:17], v[66:67], -v[30:31]
	v_add_f64 v[18:19], v[28:29], v[40:41]
	v_add_f64 v[22:23], v[28:29], -v[40:41]
	v_add_f64 v[28:29], v[24:25], v[129:130]
	v_add_f64 v[14:15], v[20:21], v[60:61]
	v_add_f64 v[20:21], v[20:21], -v[60:61]
	v_fma_f64 v[30:31], v[44:45], -0.5, v[0:1]
	v_add_f64 v[44:45], v[32:33], -v[123:124]
	v_add_f64 v[60:61], v[46:47], v[38:39]
	v_add_f64 v[62:63], v[46:47], -v[38:39]
	v_add_f64 v[66:67], v[68:69], v[64:65]
	v_add_f64 v[64:65], v[68:69], -v[64:65]
	v_add_f64 v[68:69], v[70:71], v[72:73]
	v_add_f64 v[70:71], v[70:71], -v[72:73]
	v_add_f64 v[46:47], v[76:77], v[26:27]
	v_add_f64 v[72:73], v[76:77], -v[26:27]
	v_fma_f64 v[28:29], v[28:29], -0.5, v[78:79]
	ds_read2_b64 v[38:41], v105 offset0:32 offset1:176
	v_fma_f64 v[135:136], v[44:45], s[4:5], v[30:31]
	v_add_f64 v[0:1], v[0:1], v[80:81]
	v_fma_f64 v[44:45], v[44:45], s[0:1], v[30:31]
	v_add_f64 v[30:31], v[32:33], v[123:124]
	s_waitcnt lgkmcnt(0)
	v_add_f64 v[82:83], v[38:39], v[32:33]
	v_fma_f64 v[32:33], v[46:47], -0.5, v[74:75]
	v_add_f64 v[46:47], v[24:25], -v[129:130]
	v_fma_f64 v[137:138], v[72:73], s[0:1], v[28:29]
	v_fma_f64 v[28:29], v[72:73], s[4:5], v[28:29]
	v_add_f64 v[72:73], v[0:1], v[94:95]
	v_add_f64 v[0:1], v[80:81], -v[94:95]
	v_fma_f64 v[30:31], v[30:31], -0.5, v[38:39]
	v_add_f64 v[38:39], v[74:75], v[76:77]
	v_add_f64 v[24:25], v[78:79], v[24:25]
	v_fma_f64 v[74:75], v[46:47], s[4:5], v[32:33]
	v_mul_f64 v[76:77], v[137:138], s[4:5]
	v_mul_f64 v[78:79], v[137:138], 0.5
	v_add_f64 v[82:83], v[82:83], v[123:124]
	v_fma_f64 v[32:33], v[46:47], s[0:1], v[32:33]
	v_mul_f64 v[46:47], v[28:29], s[4:5]
	v_mul_f64 v[28:29], v[28:29], -0.5
	v_add_f64 v[26:27], v[38:39], v[26:27]
	v_fma_f64 v[38:39], v[0:1], s[0:1], v[30:31]
	v_fma_f64 v[76:77], v[74:75], 0.5, v[76:77]
	v_fma_f64 v[123:124], v[74:75], s[0:1], v[78:79]
	v_fma_f64 v[94:95], v[0:1], s[4:5], v[30:31]
	v_add_f64 v[80:81], v[24:25], v[129:130]
	v_fma_f64 v[46:47], v[32:33], -0.5, v[46:47]
	v_fma_f64 v[129:130], v[32:33], s[0:1], v[28:29]
	v_add_f64 v[0:1], v[72:73], v[26:27]
	v_add_f64 v[24:25], v[72:73], -v[26:27]
	v_add_f64 v[28:29], v[135:136], v[76:77]
	v_add_f64 v[26:27], v[135:136], -v[76:77]
	v_add_f64 v[78:79], v[38:39], v[123:124]
	v_add_f64 v[76:77], v[38:39], -v[123:124]
	v_add_f64 v[38:39], v[92:93], v[133:134]
	v_add_f64 v[30:31], v[44:45], v[46:47]
	v_add_f64 v[32:33], v[44:45], -v[46:47]
	v_add_f64 v[72:73], v[82:83], v[80:81]
	v_add_f64 v[74:75], v[82:83], -v[80:81]
	v_add_f64 v[44:45], v[86:87], v[125:126]
	v_add_f64 v[46:47], v[88:89], v[127:128]
	;; [unrolled: 1-line block ×3, first 2 shown]
	v_add_f64 v[82:83], v[94:95], -v[129:130]
	v_add_f64 v[94:95], v[2:3], v[86:87]
	v_add_f64 v[123:124], v[90:91], v[131:132]
	v_add_f64 v[129:130], v[90:91], -v[131:132]
	v_fma_f64 v[38:39], v[38:39], -0.5, v[42:43]
	v_fma_f64 v[2:3], v[44:45], -0.5, v[2:3]
	;; [unrolled: 1-line block ×3, first 2 shown]
	v_add_f64 v[46:47], v[88:89], -v[127:128]
	v_add_f64 v[40:41], v[40:41], v[88:89]
	v_add_f64 v[88:89], v[94:95], v[125:126]
	v_fma_f64 v[94:95], v[123:124], -0.5, v[84:85]
	v_add_f64 v[123:124], v[92:93], -v[133:134]
	v_fma_f64 v[135:136], v[129:130], s[0:1], v[38:39]
	v_fma_f64 v[38:39], v[129:130], s[4:5], v[38:39]
	v_add_f64 v[86:87], v[86:87], -v[125:126]
	v_fma_f64 v[125:126], v[46:47], s[4:5], v[2:3]
	v_fma_f64 v[2:3], v[46:47], s[0:1], v[2:3]
	v_add_f64 v[46:47], v[84:85], v[90:91]
	v_add_f64 v[42:43], v[42:43], v[92:93]
	v_fma_f64 v[84:85], v[123:124], s[4:5], v[94:95]
	v_mul_f64 v[90:91], v[135:136], s[4:5]
	v_fma_f64 v[94:95], v[123:124], s[0:1], v[94:95]
	v_mul_f64 v[123:124], v[38:39], s[4:5]
	v_mul_f64 v[92:93], v[135:136], 0.5
	v_mul_f64 v[38:39], v[38:39], -0.5
	v_add_f64 v[46:47], v[46:47], v[131:132]
	v_add_f64 v[40:41], v[40:41], v[127:128]
	v_fma_f64 v[127:128], v[86:87], s[0:1], v[44:45]
	v_fma_f64 v[90:91], v[84:85], 0.5, v[90:91]
	v_fma_f64 v[44:45], v[86:87], s[4:5], v[44:45]
	v_fma_f64 v[86:87], v[94:95], -0.5, v[123:124]
	v_fma_f64 v[92:93], v[84:85], s[0:1], v[92:93]
	v_fma_f64 v[38:39], v[94:95], s[0:1], v[38:39]
	v_add_f64 v[42:43], v[42:43], v[133:134]
	v_add_f64 v[123:124], v[88:89], v[46:47]
	v_add_f64 v[46:47], v[88:89], -v[46:47]
	v_add_f64 v[129:130], v[125:126], v[90:91]
	v_add_f64 v[125:126], v[125:126], -v[90:91]
	v_add_f64 v[131:132], v[2:3], v[86:87]
	v_add_f64 v[90:91], v[127:128], v[92:93]
	v_add_f64 v[88:89], v[127:128], -v[92:93]
	v_add_f64 v[92:93], v[44:45], v[38:39]
	v_add_f64 v[94:95], v[44:45], -v[38:39]
	v_mul_u32_u24_e32 v38, 0x6c0, v119
	v_lshlrev_b32_sdwa v39, v114, v120 dst_sel:DWORD dst_unused:UNUSED_PAD src0_sel:DWORD src1_sel:BYTE_0
	v_add_f64 v[2:3], v[2:3], -v[86:87]
	v_add3_u32 v114, 0, v38, v39
	s_barrier
	ds_write2_b64 v114, v[34:35], v[36:37] offset1:36
	ds_write2_b64 v114, v[10:11], v[4:5] offset0:72 offset1:108
	ds_write2_b64 v114, v[8:9], v[12:13] offset0:144 offset1:180
	v_mul_u32_u24_e32 v4, 0x6c0, v115
	v_lshlrev_b32_e32 v5, 3, v116
	v_add3_u32 v115, 0, v4, v5
	v_mul_u32_u24_e32 v4, 0x6c0, v117
	v_lshlrev_b32_e32 v5, 3, v118
	v_add3_u32 v116, 0, v4, v5
	ds_write2_b64 v115, v[6:7], v[14:15] offset1:36
	ds_write2_b64 v115, v[18:19], v[16:17] offset0:72 offset1:108
	ds_write2_b64 v115, v[20:21], v[22:23] offset0:144 offset1:180
	ds_write2_b64 v116, v[0:1], v[28:29] offset1:36
	ds_write2_b64 v116, v[30:31], v[24:25] offset0:72 offset1:108
	ds_write2_b64 v116, v[26:27], v[32:33] offset0:144 offset1:180
	v_mul_u32_u24_e32 v0, 0x6c0, v121
	v_lshlrev_b32_e32 v1, 3, v122
	v_add3_u32 v117, 0, v0, v1
	v_add_f64 v[84:85], v[40:41], v[42:43]
	v_add_f64 v[86:87], v[40:41], -v[42:43]
	ds_write2_b64 v117, v[123:124], v[129:130] offset1:36
	ds_write2_b64 v117, v[131:132], v[46:47] offset0:72 offset1:108
	ds_write2_b64 v117, v[125:126], v[2:3] offset0:144 offset1:180
	s_waitcnt lgkmcnt(0)
	s_barrier
	ds_read2_b64 v[4:7], v97 offset1:144
	ds_read2_b64 v[40:43], v101 offset0:96 offset1:240
	ds_read2_b64 v[36:39], v100 offset0:64 offset1:208
	;; [unrolled: 1-line block ×4, first 2 shown]
	ds_read2_b64 v[28:31], v107 offset1:144
	ds_read2_b64 v[24:27], v106 offset0:96 offset1:240
	ds_read2_b64 v[20:23], v108 offset0:64 offset1:208
	;; [unrolled: 1-line block ×3, first 2 shown]
	ds_read2_b64 v[12:15], v109 offset1:144
	ds_read2_b64 v[8:11], v111 offset0:96 offset1:240
	ds_read_b64 v[46:47], v97 offset:4608
	ds_read_b64 v[44:45], v113 offset:5760
	s_waitcnt lgkmcnt(0)
	s_barrier
	ds_write2_b64 v114, v[48:49], v[54:55] offset1:36
	ds_write2_b64 v114, v[56:57], v[50:51] offset0:72 offset1:108
	ds_write2_b64 v114, v[52:53], v[58:59] offset0:144 offset1:180
	ds_write2_b64 v115, v[60:61], v[66:67] offset1:36
	ds_write2_b64 v115, v[68:69], v[62:63] offset0:72 offset1:108
	ds_write2_b64 v115, v[64:65], v[70:71] offset0:144 offset1:180
	;; [unrolled: 3-line block ×4, first 2 shown]
	v_mul_u32_u24_e32 v48, 3, v96
	v_lshlrev_b32_e32 v51, 4, v48
	s_waitcnt lgkmcnt(0)
	s_barrier
	global_load_dwordx4 v[60:63], v51, s[8:9] offset:3360
	s_movk_i32 s0, 0x48
	v_add_u32_e32 v48, 0xffffffb8, v96
	v_cmp_gt_u32_e64 s[0:1], s0, v96
	v_cndmask_b32_e64 v48, v48, v112, s[0:1]
	v_mov_b32_e32 v57, 0
	v_mul_i32_i24_e32 v56, 3, v48
	v_lshlrev_b64 v[49:50], 4, v[56:57]
	v_mov_b32_e32 v53, s9
	v_add_co_u32_e64 v49, s[0:1], s8, v49
	v_addc_co_u32_e64 v50, s[0:1], v53, v50, s[0:1]
	global_load_dwordx4 v[64:67], v[49:50], off offset:3360
	global_load_dwordx4 v[68:71], v51, s[8:9] offset:3376
	global_load_dwordx4 v[72:75], v51, s[8:9] offset:3392
	global_load_dwordx4 v[76:79], v[49:50], off offset:3376
	global_load_dwordx4 v[80:83], v[49:50], off offset:3392
	v_lshrrev_b16_e32 v49, 3, v102
	v_add_co_u32_e64 v52, s[0:1], s8, v51
	v_mul_u32_u24_e32 v49, 0x12f7, v49
	s_movk_i32 s4, 0x1000
	v_addc_co_u32_e64 v53, s[0:1], 0, v53, s[0:1]
	v_lshrrev_b32_e32 v49, 17, v49
	v_add_co_u32_e64 v50, s[0:1], s4, v52
	v_mul_lo_u16_e32 v49, 0xd8, v49
	v_addc_co_u32_e64 v51, s[0:1], 0, v53, s[0:1]
	v_sub_u16_e32 v49, v102, v49
	global_load_dwordx4 v[84:87], v[50:51], off offset:2720
	v_mul_u32_u24_e32 v50, 3, v49
	v_lshlrev_b32_e32 v54, 4, v50
	global_load_dwordx4 v[88:91], v54, s[8:9] offset:3360
	s_movk_i32 s0, 0x1aa0
	v_add_co_u32_e64 v50, s[0:1], s0, v52
	v_addc_co_u32_e64 v51, s[0:1], 0, v53, s[0:1]
	global_load_dwordx4 v[92:95], v[50:51], off offset:16
	global_load_dwordx4 v[114:117], v[50:51], off offset:32
	global_load_dwordx4 v[118:121], v54, s[8:9] offset:3376
	global_load_dwordx4 v[122:125], v54, s[8:9] offset:3392
	v_add_u32_e32 v58, 0x240, v96
	v_lshrrev_b16_e32 v50, 3, v58
	v_mul_u32_u24_e32 v50, 0x12f7, v50
	v_lshrrev_b32_e32 v50, 17, v50
	v_mul_lo_u16_e32 v51, 0xd8, v50
	v_sub_u16_e32 v51, v58, v51
	v_mul_u32_u24_e32 v54, 3, v51
	v_add_u32_e32 v59, 0x2d0, v96
	v_lshlrev_b32_e32 v55, 4, v54
	v_lshrrev_b16_e32 v54, 3, v59
	v_mul_u32_u24_e32 v54, 0x12f7, v54
	v_lshrrev_b32_e32 v54, 17, v54
	global_load_dwordx4 v[126:129], v55, s[8:9] offset:3360
	v_mul_lo_u16_e32 v54, 0xd8, v54
	v_sub_u16_e32 v54, v59, v54
	v_mul_u32_u24_e32 v56, 3, v54
	v_lshlrev_b32_e32 v56, 4, v56
	global_load_dwordx4 v[130:133], v56, s[8:9] offset:3360
	global_load_dwordx4 v[134:137], v55, s[8:9] offset:3376
	;; [unrolled: 1-line block ×3, first 2 shown]
	ds_read2_b64 v[142:145], v101 offset0:96 offset1:240
	global_load_dwordx4 v[146:149], v55, s[8:9] offset:3392
	global_load_dwordx4 v[150:153], v56, s[8:9] offset:3392
	ds_read2_b64 v[154:157], v100 offset0:64 offset1:208
	ds_read2_b64 v[158:161], v103 offset0:32 offset1:176
	v_add_u32_e32 v112, 0xd00, v97
	s_movk_i32 s0, 0x47
	v_cmp_lt_u32_e64 s[0:1], s0, v96
	s_waitcnt vmcnt(17) lgkmcnt(2)
	v_mul_f64 v[55:56], v[142:143], v[62:63]
	v_mul_f64 v[62:63], v[40:41], v[62:63]
	v_fma_f64 v[55:56], v[40:41], v[60:61], v[55:56]
	s_waitcnt vmcnt(16)
	v_mul_f64 v[162:163], v[144:145], v[66:67]
	v_mul_f64 v[66:67], v[42:43], v[66:67]
	s_waitcnt vmcnt(15) lgkmcnt(1)
	v_mul_f64 v[164:165], v[154:155], v[70:71]
	v_mul_f64 v[40:41], v[36:37], v[70:71]
	v_fma_f64 v[70:71], v[142:143], v[60:61], -v[62:63]
	s_waitcnt vmcnt(14) lgkmcnt(0)
	v_mul_f64 v[60:61], v[158:159], v[74:75]
	v_mul_f64 v[62:63], v[32:33], v[74:75]
	v_fma_f64 v[142:143], v[42:43], v[64:65], v[162:163]
	v_fma_f64 v[74:75], v[144:145], v[64:65], -v[66:67]
	v_fma_f64 v[64:65], v[36:37], v[68:69], v[164:165]
	s_waitcnt vmcnt(13)
	v_mul_f64 v[36:37], v[156:157], v[78:79]
	v_mul_f64 v[66:67], v[38:39], v[78:79]
	v_fma_f64 v[68:69], v[154:155], v[68:69], -v[40:41]
	ds_read2_b64 v[40:43], v107 offset1:144
	v_fma_f64 v[32:33], v[32:33], v[72:73], v[60:61]
	v_fma_f64 v[60:61], v[158:159], v[72:73], -v[62:63]
	s_waitcnt vmcnt(12)
	v_mul_f64 v[62:63], v[160:161], v[82:83]
	v_mul_f64 v[72:73], v[34:35], v[82:83]
	v_fma_f64 v[78:79], v[38:39], v[76:77], v[36:37]
	s_waitcnt vmcnt(11) lgkmcnt(0)
	v_mul_f64 v[82:83], v[40:41], v[86:87]
	v_fma_f64 v[76:77], v[156:157], v[76:77], -v[66:67]
	v_mul_f64 v[66:67], v[28:29], v[86:87]
	s_waitcnt vmcnt(10)
	v_mul_f64 v[86:87], v[42:43], v[90:91]
	ds_read2_b64 v[36:39], v106 offset0:96 offset1:240
	v_fma_f64 v[34:35], v[34:35], v[80:81], v[62:63]
	v_mul_f64 v[62:63], v[30:31], v[90:91]
	v_fma_f64 v[72:73], v[160:161], v[80:81], -v[72:73]
	v_fma_f64 v[80:81], v[28:29], v[84:85], v[82:83]
	s_waitcnt vmcnt(9) lgkmcnt(0)
	v_mul_f64 v[82:83], v[36:37], v[94:95]
	v_fma_f64 v[84:85], v[40:41], v[84:85], -v[66:67]
	v_fma_f64 v[40:41], v[30:31], v[88:89], v[86:87]
	v_mul_f64 v[66:67], v[24:25], v[94:95]
	ds_read2_b64 v[28:31], v108 offset0:64 offset1:208
	s_waitcnt vmcnt(7)
	v_mul_f64 v[86:87], v[38:39], v[120:121]
	v_fma_f64 v[88:89], v[42:43], v[88:89], -v[62:63]
	v_mul_f64 v[42:43], v[26:27], v[120:121]
	v_fma_f64 v[82:83], v[24:25], v[92:93], v[82:83]
	s_waitcnt lgkmcnt(0)
	v_mul_f64 v[62:63], v[28:29], v[116:117]
	v_mul_f64 v[90:91], v[20:21], v[116:117]
	s_waitcnt vmcnt(6)
	v_mul_f64 v[94:95], v[30:31], v[124:125]
	v_fma_f64 v[92:93], v[36:37], v[92:93], -v[66:67]
	v_fma_f64 v[36:37], v[26:27], v[118:119], v[86:87]
	v_mul_f64 v[66:67], v[22:23], v[124:125]
	ds_read2_b64 v[24:27], v110 offset0:32 offset1:176
	v_fma_f64 v[86:87], v[38:39], v[118:119], -v[42:43]
	v_fma_f64 v[38:39], v[20:21], v[114:115], v[62:63]
	v_fma_f64 v[28:29], v[28:29], v[114:115], -v[90:91]
	v_fma_f64 v[42:43], v[22:23], v[122:123], v[94:95]
	s_waitcnt vmcnt(5) lgkmcnt(0)
	v_mul_f64 v[62:63], v[24:25], v[128:129]
	s_waitcnt vmcnt(4)
	v_mul_f64 v[90:91], v[26:27], v[132:133]
	v_fma_f64 v[30:31], v[30:31], v[122:123], -v[66:67]
	v_mul_f64 v[66:67], v[16:17], v[128:129]
	v_mul_f64 v[94:95], v[18:19], v[132:133]
	s_waitcnt vmcnt(3)
	v_mul_f64 v[116:117], v[12:13], v[136:137]
	v_add_f64 v[32:33], v[55:56], -v[32:33]
	ds_read2_b64 v[20:23], v109 offset1:144
	v_fma_f64 v[118:119], v[16:17], v[126:127], v[62:63]
	v_add_f64 v[62:63], v[4:5], -v[64:65]
	v_add_f64 v[78:79], v[6:7], -v[78:79]
	v_fma_f64 v[120:121], v[24:25], v[126:127], -v[66:67]
	v_fma_f64 v[24:25], v[18:19], v[130:131], v[90:91]
	v_fma_f64 v[90:91], v[26:27], v[130:131], -v[94:95]
	v_add_f64 v[26:27], v[70:71], -v[60:61]
	s_waitcnt lgkmcnt(0)
	v_mul_f64 v[114:115], v[20:21], v[136:137]
	v_fma_f64 v[94:95], v[20:21], v[134:135], -v[116:117]
	v_fma_f64 v[4:5], v[4:5], 2.0, -v[62:63]
	v_fma_f64 v[20:21], v[55:56], 2.0, -v[32:33]
	ds_read2_b64 v[16:19], v111 offset0:96 offset1:240
	s_waitcnt vmcnt(2)
	v_mul_f64 v[55:56], v[22:23], v[140:141]
	v_mul_f64 v[60:61], v[14:15], v[140:141]
	v_add_f64 v[122:123], v[62:63], v[26:27]
	v_fma_f64 v[12:13], v[12:13], v[134:135], v[114:115]
	s_waitcnt vmcnt(0) lgkmcnt(0)
	v_mul_f64 v[114:115], v[18:19], v[152:153]
	v_mul_f64 v[64:65], v[16:17], v[148:149]
	v_add_f64 v[20:21], v[4:5], -v[20:21]
	v_mul_f64 v[66:67], v[8:9], v[148:149]
	v_fma_f64 v[14:15], v[14:15], v[138:139], v[55:56]
	v_fma_f64 v[55:56], v[22:23], v[138:139], -v[60:61]
	v_fma_f64 v[22:23], v[62:63], 2.0, -v[122:123]
	ds_read2_b64 v[60:63], v97 offset1:144
	v_mul_f64 v[116:117], v[10:11], v[152:153]
	v_fma_f64 v[10:11], v[10:11], v[150:151], v[114:115]
	v_fma_f64 v[4:5], v[4:5], 2.0, -v[20:21]
	v_add_f64 v[114:115], v[142:143], -v[34:35]
	s_waitcnt lgkmcnt(0)
	v_add_f64 v[68:69], v[60:61], -v[68:69]
	v_add_f64 v[72:73], v[74:75], -v[72:73]
	v_fma_f64 v[8:9], v[8:9], v[146:147], v[64:65]
	v_fma_f64 v[16:17], v[16:17], v[146:147], -v[66:67]
	v_fma_f64 v[18:19], v[18:19], v[150:151], -v[116:117]
	ds_read_b64 v[116:117], v97 offset:4608
	ds_read_b64 v[124:125], v113 offset:5760
	ds_read2_b64 v[64:67], v105 offset0:32 offset1:176
	s_waitcnt lgkmcnt(0)
	s_barrier
	v_fma_f64 v[6:7], v[6:7], 2.0, -v[78:79]
	v_fma_f64 v[34:35], v[142:143], 2.0, -v[114:115]
	v_add_f64 v[82:83], v[0:1], -v[82:83]
	v_add_f64 v[126:127], v[80:81], -v[38:39]
	v_fma_f64 v[60:61], v[60:61], 2.0, -v[68:69]
	v_fma_f64 v[26:27], v[70:71], 2.0, -v[26:27]
	ds_write2_b64 v97, v[4:5], v[22:23] offset1:216
	v_add_f64 v[22:23], v[78:79], v[72:73]
	v_add_f64 v[12:13], v[46:47], -v[12:13]
	v_add_f64 v[4:5], v[6:7], -v[34:35]
	v_fma_f64 v[0:1], v[0:1], 2.0, -v[82:83]
	v_fma_f64 v[34:35], v[80:81], 2.0, -v[126:127]
	v_add_f64 v[130:131], v[118:119], -v[8:9]
	v_add_f64 v[80:81], v[60:61], -v[26:27]
	ds_write2_b64 v112, v[20:21], v[122:123] offset0:16 offset1:232
	v_fma_f64 v[26:27], v[78:79], 2.0, -v[22:23]
	v_add_f64 v[78:79], v[84:85], -v[28:29]
	v_add_f64 v[122:123], v[24:25], -v[10:11]
	;; [unrolled: 1-line block ×6, first 2 shown]
	v_fma_f64 v[20:21], v[46:47], 2.0, -v[12:13]
	v_add_f64 v[46:47], v[120:121], -v[16:17]
	v_add_f64 v[14:15], v[82:83], v[78:79]
	v_fma_f64 v[16:17], v[118:119], 2.0, -v[130:131]
	v_add_f64 v[118:119], v[90:91], -v[18:19]
	v_fma_f64 v[18:19], v[24:25], 2.0, -v[122:123]
	v_mov_b32_e32 v24, 0x1b00
	v_cndmask_b32_e64 v24, 0, v24, s[0:1]
	v_lshlrev_b32_e32 v25, 3, v48
	v_add3_u32 v134, 0, v24, v25
	v_add_u32_e32 v135, 0xd00, v134
	v_fma_f64 v[6:7], v[6:7], 2.0, -v[4:5]
	ds_write2_b64 v135, v[4:5], v[22:23] offset0:16 offset1:232
	v_fma_f64 v[0:1], v[0:1], 2.0, -v[28:29]
	v_fma_f64 v[22:23], v[82:83], 2.0, -v[14:15]
	;; [unrolled: 1-line block ×3, first 2 shown]
	v_add_f64 v[128:129], v[68:69], -v[32:33]
	v_fma_f64 v[32:33], v[40:41], 2.0, -v[70:71]
	v_add_f64 v[132:133], v[88:89], -v[30:31]
	v_fma_f64 v[30:31], v[44:45], 2.0, -v[8:9]
	v_add_u32_e32 v136, 0x1d00, v113
	ds_write2_b64 v134, v[6:7], v[26:27] offset1:216
	ds_write2_b64 v136, v[0:1], v[22:23] offset0:8 offset1:224
	v_lshl_add_u32 v0, v49, 3, 0
	v_add_f64 v[16:17], v[20:21], -v[16:17]
	v_add_f64 v[10:11], v[2:3], -v[32:33]
	v_add_f64 v[24:25], v[36:37], v[132:133]
	v_add_f64 v[6:7], v[12:13], v[46:47]
	v_add_f64 v[18:19], v[30:31], -v[18:19]
	v_add_f64 v[4:5], v[8:9], v[118:119]
	v_add_u32_e32 v138, 0x3600, v0
	v_add_u32_e32 v139, 0x4300, v0
	v_mul_u32_u24_e32 v0, 0x1b00, v50
	v_lshlrev_b32_e32 v1, 3, v51
	v_add_f64 v[50:51], v[62:63], -v[76:77]
	v_add_f64 v[76:77], v[64:65], -v[92:93]
	;; [unrolled: 1-line block ×3, first 2 shown]
	v_fma_f64 v[72:73], v[74:75], 2.0, -v[72:73]
	v_fma_f64 v[74:75], v[84:85], 2.0, -v[78:79]
	v_add_f64 v[78:79], v[116:117], -v[94:95]
	v_add3_u32 v140, 0, v0, v1
	v_lshl_add_u32 v0, v54, 3, 0
	v_add_f64 v[54:55], v[124:125], -v[55:56]
	v_fma_f64 v[2:3], v[2:3], 2.0, -v[10:11]
	v_fma_f64 v[26:27], v[36:37], 2.0, -v[24:25]
	;; [unrolled: 1-line block ×12, first 2 shown]
	v_add_u32_e32 v137, 0x2a00, v113
	v_add_u32_e32 v141, 0xd00, v140
	;; [unrolled: 1-line block ×4, first 2 shown]
	v_fma_f64 v[86:87], v[90:91], 2.0, -v[118:119]
	v_fma_f64 v[90:91], v[124:125], 2.0, -v[54:55]
	ds_write2_b64 v137, v[28:29], v[14:15] offset0:24 offset1:240
	ds_write2_b64 v138, v[2:3], v[26:27] offset1:216
	ds_write2_b64 v139, v[10:11], v[24:25] offset0:16 offset1:232
	ds_write2_b64 v140, v[20:21], v[12:13] offset1:216
	ds_write2_b64 v141, v[16:17], v[6:7] offset0:16 offset1:232
	ds_write2_b64 v142, v[30:31], v[8:9] offset0:32 offset1:248
	;; [unrolled: 1-line block ×3, first 2 shown]
	s_waitcnt lgkmcnt(0)
	s_barrier
	ds_read2_b64 v[0:3], v97 offset1:144
	ds_read2_b64 v[12:15], v101 offset0:96 offset1:240
	ds_read2_b64 v[4:7], v100 offset0:64 offset1:208
	;; [unrolled: 1-line block ×4, first 2 shown]
	ds_read2_b64 v[24:27], v107 offset1:144
	ds_read2_b64 v[20:23], v106 offset0:96 offset1:240
	ds_read_b64 v[48:49], v97 offset:4608
	ds_read_b64 v[44:45], v113 offset:5760
	ds_read2_b64 v[28:31], v108 offset0:64 offset1:208
	ds_read2_b64 v[32:35], v110 offset0:32 offset1:176
	ds_read2_b64 v[36:39], v109 offset1:144
	ds_read2_b64 v[40:43], v111 offset0:96 offset1:240
	s_waitcnt lgkmcnt(0)
	s_barrier
	ds_write2_b64 v112, v[80:81], v[128:129] offset0:16 offset1:232
	v_fma_f64 v[60:61], v[60:61], 2.0, -v[80:81]
	v_add_f64 v[72:73], v[62:63], -v[72:73]
	v_add_f64 v[80:81], v[50:51], -v[114:115]
	;; [unrolled: 1-line block ×8, first 2 shown]
	v_fma_f64 v[68:69], v[68:69], 2.0, -v[128:129]
	v_add_f64 v[86:87], v[90:91], -v[86:87]
	v_add_f64 v[114:115], v[54:55], -v[122:123]
	v_fma_f64 v[62:63], v[62:63], 2.0, -v[72:73]
	v_fma_f64 v[50:51], v[50:51], 2.0, -v[80:81]
	;; [unrolled: 1-line block ×6, first 2 shown]
	s_movk_i32 s0, 0x6000
	v_fma_f64 v[88:89], v[88:89], 2.0, -v[46:47]
	v_fma_f64 v[78:79], v[78:79], 2.0, -v[94:95]
	;; [unrolled: 1-line block ×4, first 2 shown]
	ds_write2_b64 v97, v[60:61], v[68:69] offset1:216
	ds_write2_b64 v134, v[62:63], v[50:51] offset1:216
	ds_write2_b64 v135, v[72:73], v[80:81] offset0:16 offset1:232
	ds_write2_b64 v136, v[64:65], v[76:77] offset0:8 offset1:224
	;; [unrolled: 1-line block ×3, first 2 shown]
	ds_write2_b64 v138, v[66:67], v[82:83] offset1:216
	ds_write2_b64 v139, v[84:85], v[70:71] offset0:16 offset1:232
	ds_write2_b64 v140, v[88:89], v[78:79] offset1:216
	ds_write2_b64 v141, v[46:47], v[94:95] offset0:16 offset1:232
	ds_write2_b64 v142, v[90:91], v[54:55] offset0:32 offset1:248
	;; [unrolled: 1-line block ×3, first 2 shown]
	s_waitcnt lgkmcnt(0)
	s_barrier
	s_and_saveexec_b64 s[4:5], vcc
	s_cbranch_execz .LBB0_13
; %bb.12:
	v_mul_u32_u24_e32 v46, 3, v59
	v_lshlrev_b32_e32 v46, 4, v46
	v_mov_b32_e32 v143, s9
	v_add_co_u32_e32 v50, vcc, s8, v46
	v_addc_co_u32_e32 v51, vcc, 0, v143, vcc
	v_add_co_u32_e32 v46, vcc, 0x35a0, v50
	v_addc_co_u32_e32 v47, vcc, 0, v51, vcc
	v_add_co_u32_e32 v50, vcc, 0x3000, v50
	v_addc_co_u32_e32 v51, vcc, 0, v51, vcc
	global_load_dwordx4 v[60:63], v[50:51], off offset:1440
	global_load_dwordx4 v[64:67], v[46:47], off offset:32
	;; [unrolled: 1-line block ×3, first 2 shown]
	v_mov_b32_e32 v46, 0xfffffe50
	v_mad_u32_u24 v56, v59, 3, v46
	v_lshlrev_b64 v[46:47], 4, v[56:57]
	s_movk_i32 s4, 0x35a0
	v_add_co_u32_e32 v50, vcc, s8, v46
	v_addc_co_u32_e32 v51, vcc, v143, v47, vcc
	v_add_co_u32_e32 v46, vcc, s4, v50
	s_movk_i32 s1, 0x3000
	v_addc_co_u32_e32 v47, vcc, 0, v51, vcc
	v_add_co_u32_e32 v50, vcc, s1, v50
	v_addc_co_u32_e32 v51, vcc, 0, v51, vcc
	global_load_dwordx4 v[72:75], v[46:47], off offset:16
	global_load_dwordx4 v[76:79], v[50:51], off offset:1440
	;; [unrolled: 1-line block ×3, first 2 shown]
	v_mov_b32_e32 v50, 0xfffffca0
	v_mad_u32_u24 v56, v59, 3, v50
	v_mov_b32_e32 v54, 0xfffffaf0
	v_lshlrev_b64 v[50:51], 4, v[56:57]
	v_mad_u32_u24 v56, v59, 3, v54
	v_lshlrev_b64 v[54:55], 4, v[56:57]
	v_add_co_u32_e32 v56, vcc, s8, v50
	ds_read2_b64 v[84:87], v109 offset1:144
	ds_read2_b64 v[88:91], v110 offset0:32 offset1:176
	ds_read2_b64 v[92:95], v111 offset0:96 offset1:240
	ds_read_b64 v[46:47], v113 offset:5760
	ds_read_b64 v[133:134], v97 offset:4608
	v_addc_co_u32_e32 v109, vcc, v143, v51, vcc
	v_add_co_u32_e32 v50, vcc, s4, v56
	v_addc_co_u32_e32 v51, vcc, 0, v109, vcc
	v_add_co_u32_e32 v125, vcc, s1, v56
	;; [unrolled: 2-line block ×3, first 2 shown]
	v_addc_co_u32_e32 v55, vcc, v143, v55, vcc
	global_load_dwordx4 v[109:112], v[50:51], off offset:32
	global_load_dwordx4 v[113:116], v[50:51], off offset:16
	v_add_co_u32_e32 v50, vcc, s4, v54
	v_addc_co_u32_e32 v51, vcc, 0, v55, vcc
	v_add_co_u32_e32 v54, vcc, s1, v54
	v_addc_co_u32_e32 v55, vcc, 0, v55, vcc
	global_load_dwordx4 v[117:120], v[54:55], off offset:1440
	global_load_dwordx4 v[121:124], v[50:51], off offset:32
	s_nop 0
	global_load_dwordx4 v[125:128], v[125:126], off offset:1440
	s_nop 0
	global_load_dwordx4 v[129:132], v[50:51], off offset:16
	s_waitcnt vmcnt(11) lgkmcnt(3)
	v_mul_f64 v[135:136], v[62:63], v[90:91]
	v_mul_f64 v[62:63], v[34:35], v[62:63]
	s_waitcnt vmcnt(9)
	v_mul_f64 v[50:51], v[38:39], v[70:71]
	s_waitcnt lgkmcnt(2)
	v_mul_f64 v[54:55], v[66:67], v[94:95]
	v_mul_f64 v[70:71], v[86:87], v[70:71]
	;; [unrolled: 1-line block ×3, first 2 shown]
	v_fma_f64 v[34:35], v[34:35], v[60:61], v[135:136]
	v_fma_f64 v[62:63], v[60:61], v[90:91], -v[62:63]
	v_fma_f64 v[50:51], v[68:69], v[86:87], -v[50:51]
	v_fma_f64 v[42:43], v[42:43], v[64:65], v[54:55]
	v_fma_f64 v[38:39], v[38:39], v[68:69], v[70:71]
	v_fma_f64 v[54:55], v[64:65], v[94:95], -v[66:67]
	s_waitcnt vmcnt(8)
	v_mul_f64 v[60:61], v[84:85], v[74:75]
	v_mul_f64 v[137:138], v[36:37], v[74:75]
	s_waitcnt vmcnt(7)
	v_mul_f64 v[139:140], v[78:79], v[88:89]
	s_waitcnt vmcnt(6)
	v_mul_f64 v[141:142], v[82:83], v[92:93]
	s_waitcnt lgkmcnt(1)
	v_add_f64 v[68:69], v[46:47], -v[50:51]
	v_add_f64 v[70:71], v[44:45], -v[38:39]
	;; [unrolled: 1-line block ×4, first 2 shown]
	v_fma_f64 v[60:61], v[36:37], v[72:73], v[60:61]
	v_fma_f64 v[64:65], v[72:73], v[84:85], -v[137:138]
	v_fma_f64 v[74:75], v[32:33], v[76:77], v[139:140]
	v_fma_f64 v[66:67], v[40:41], v[80:81], v[141:142]
	v_mul_f64 v[32:33], v[32:33], v[78:79]
	v_mul_f64 v[40:41], v[40:41], v[82:83]
	v_fma_f64 v[46:47], v[46:47], 2.0, -v[68:69]
	v_fma_f64 v[44:45], v[44:45], 2.0, -v[70:71]
	v_add_f64 v[137:138], v[48:49], -v[60:61]
	s_waitcnt lgkmcnt(0)
	v_add_f64 v[64:65], v[133:134], -v[64:65]
	v_fma_f64 v[54:55], v[62:63], 2.0, -v[38:39]
	v_add_f64 v[78:79], v[74:75], -v[66:67]
	v_fma_f64 v[66:67], v[76:77], v[88:89], -v[32:33]
	v_fma_f64 v[40:41], v[80:81], v[92:93], -v[40:41]
	v_fma_f64 v[62:63], v[34:35], 2.0, -v[42:43]
	v_add_f64 v[34:35], v[68:69], -v[42:43]
	v_fma_f64 v[141:142], v[48:49], 2.0, -v[137:138]
	v_mov_b32_e32 v48, 0xfffff940
	v_add_f64 v[32:33], v[70:71], v[38:39]
	v_add_f64 v[50:51], v[64:65], -v[78:79]
	v_mad_u32_u24 v56, v59, 3, v48
	v_add_f64 v[135:136], v[66:67], -v[40:41]
	v_lshlrev_b64 v[48:49], 4, v[56:57]
	v_add_f64 v[38:39], v[46:47], -v[54:55]
	v_add_co_u32_e32 v56, vcc, s8, v48
	v_addc_co_u32_e32 v60, vcc, v143, v49, vcc
	v_add_co_u32_e32 v48, vcc, s4, v56
	v_addc_co_u32_e32 v49, vcc, 0, v60, vcc
	v_add_co_u32_e32 v72, vcc, s1, v56
	v_add_f64 v[36:37], v[44:45], -v[62:63]
	v_fma_f64 v[42:43], v[68:69], 2.0, -v[34:35]
	v_fma_f64 v[40:41], v[70:71], 2.0, -v[32:33]
	;; [unrolled: 1-line block ×5, first 2 shown]
	v_addc_co_u32_e32 v73, vcc, 0, v60, vcc
	global_load_dwordx4 v[60:63], v[48:49], off offset:32
	global_load_dwordx4 v[64:67], v[48:49], off offset:16
	;; [unrolled: 1-line block ×3, first 2 shown]
	v_add_co_u32_e32 v48, vcc, s4, v52
	v_addc_co_u32_e32 v49, vcc, 0, v53, vcc
	v_add_co_u32_e32 v52, vcc, s1, v52
	v_fma_f64 v[143:144], v[74:75], 2.0, -v[78:79]
	ds_read2_b64 v[72:75], v107 offset1:144
	ds_read2_b64 v[76:79], v108 offset0:64 offset1:208
	v_addc_co_u32_e32 v53, vcc, 0, v53, vcc
	global_load_dwordx4 v[80:83], v[48:49], off offset:16
	global_load_dwordx4 v[84:87], v[52:53], off offset:1440
	;; [unrolled: 1-line block ×3, first 2 shown]
	s_waitcnt vmcnt(10)
	v_mul_f64 v[145:146], v[22:23], v[115:116]
	s_waitcnt vmcnt(7) lgkmcnt(1)
	v_mul_f64 v[52:53], v[127:128], v[74:75]
	s_waitcnt lgkmcnt(0)
	v_mul_f64 v[147:148], v[111:112], v[78:79]
	ds_read2_b64 v[92:95], v106 offset0:96 offset1:240
	v_add_f64 v[48:49], v[137:138], v[135:136]
	v_add_f64 v[135:136], v[139:140], -v[133:134]
	v_add_f64 v[133:134], v[141:142], -v[143:144]
	ds_read2_b64 v[105:108], v105 offset0:32 offset1:176
	s_waitcnt lgkmcnt(1)
	v_fma_f64 v[143:144], v[113:114], v[94:95], -v[145:146]
	v_fma_f64 v[145:146], v[26:27], v[125:126], v[52:53]
	v_fma_f64 v[147:148], v[30:31], v[109:110], v[147:148]
	v_mul_f64 v[94:95], v[94:95], v[115:116]
	v_mul_f64 v[26:27], v[26:27], v[127:128]
	;; [unrolled: 1-line block ×3, first 2 shown]
	s_movk_i32 s4, 0xa20
	v_fma_f64 v[52:53], v[137:138], 2.0, -v[48:49]
	s_waitcnt lgkmcnt(0)
	v_add_f64 v[111:112], v[107:108], -v[143:144]
	v_fma_f64 v[139:140], v[139:140], 2.0, -v[135:136]
	v_add_f64 v[115:116], v[145:146], -v[147:148]
	v_fma_f64 v[22:23], v[22:23], v[113:114], v[94:95]
	v_fma_f64 v[26:27], v[125:126], v[74:75], -v[26:27]
	v_fma_f64 v[30:31], v[109:110], v[78:79], -v[30:31]
	s_waitcnt vmcnt(6)
	v_mul_f64 v[74:75], v[20:21], v[131:132]
	v_mul_f64 v[78:79], v[119:120], v[72:73]
	;; [unrolled: 1-line block ×6, first 2 shown]
	v_add_f64 v[123:124], v[18:19], -v[22:23]
	v_add_f64 v[22:23], v[26:27], -v[30:31]
	v_fma_f64 v[30:31], v[129:130], v[92:93], -v[74:75]
	v_fma_f64 v[74:75], v[24:25], v[117:118], v[78:79]
	v_fma_f64 v[72:73], v[117:118], v[72:73], -v[94:95]
	v_fma_f64 v[24:25], v[121:122], v[76:77], -v[109:110]
	v_fma_f64 v[20:21], v[20:21], v[129:130], v[113:114]
	v_fma_f64 v[28:29], v[28:29], v[121:122], v[119:120]
	v_fma_f64 v[76:77], v[107:108], 2.0, -v[111:112]
	v_fma_f64 v[26:27], v[26:27], 2.0, -v[22:23]
	;; [unrolled: 1-line block ×4, first 2 shown]
	v_add_f64 v[30:31], v[105:106], -v[30:31]
	v_add_f64 v[94:95], v[72:73], -v[24:25]
	;; [unrolled: 1-line block ×5, first 2 shown]
	v_add_f64 v[18:19], v[123:124], v[22:23]
	v_add_f64 v[24:25], v[76:77], -v[26:27]
	v_add_f64 v[22:23], v[92:93], -v[78:79]
	v_fma_f64 v[121:122], v[105:106], 2.0, -v[30:31]
	v_fma_f64 v[105:106], v[72:73], 2.0, -v[94:95]
	;; [unrolled: 1-line block ×4, first 2 shown]
	v_add_f64 v[78:79], v[30:31], -v[107:108]
	v_fma_f64 v[28:29], v[111:112], 2.0, -v[20:21]
	v_fma_f64 v[74:75], v[76:77], 2.0, -v[24:25]
	;; [unrolled: 1-line block ×3, first 2 shown]
	v_add_f64 v[76:77], v[117:118], v[94:95]
	v_add_f64 v[94:95], v[121:122], -v[105:106]
	v_fma_f64 v[26:27], v[123:124], 2.0, -v[18:19]
	v_add_f64 v[92:93], v[16:17], -v[109:110]
	ds_read2_b64 v[105:108], v101 offset0:96 offset1:240
	ds_read2_b64 v[109:112], v103 offset0:32 offset1:176
	;; [unrolled: 1-line block ×3, first 2 shown]
	v_fma_f64 v[119:120], v[30:31], 2.0, -v[78:79]
	ds_read2_b64 v[125:128], v97 offset1:144
	v_mov_b32_e32 v97, v57
	v_fma_f64 v[117:118], v[117:118], 2.0, -v[76:77]
	s_waitcnt vmcnt(5) lgkmcnt(2)
	v_mul_f64 v[129:130], v[62:63], v[111:112]
	s_waitcnt vmcnt(4)
	v_mul_f64 v[30:31], v[6:7], v[66:67]
	s_waitcnt vmcnt(3)
	v_mul_f64 v[100:101], v[70:71], v[107:108]
	s_waitcnt lgkmcnt(1)
	v_mul_f64 v[66:67], v[115:116], v[66:67]
	v_fma_f64 v[123:124], v[121:122], 2.0, -v[94:95]
	v_fma_f64 v[121:122], v[16:17], 2.0, -v[92:93]
	;; [unrolled: 1-line block ×5, first 2 shown]
	v_fma_f64 v[16:17], v[64:65], v[115:116], -v[30:31]
	v_fma_f64 v[30:31], v[14:15], v[68:69], v[100:101]
	v_fma_f64 v[100:101], v[10:11], v[60:61], v[129:130]
	v_mul_f64 v[14:15], v[14:15], v[70:71]
	v_mul_f64 v[10:11], v[10:11], v[62:63]
	v_fma_f64 v[6:7], v[6:7], v[64:65], v[66:67]
	s_waitcnt vmcnt(2)
	v_mul_f64 v[62:63], v[4:5], v[82:83]
	s_waitcnt vmcnt(1)
	v_mul_f64 v[64:65], v[86:87], v[105:106]
	v_mul_f64 v[66:67], v[12:13], v[86:87]
	;; [unrolled: 1-line block ×3, first 2 shown]
	s_waitcnt vmcnt(0)
	v_mul_f64 v[86:87], v[90:91], v[109:110]
	v_mul_f64 v[70:71], v[8:9], v[90:91]
	v_fma_f64 v[14:15], v[68:69], v[107:108], -v[14:15]
	v_fma_f64 v[10:11], v[60:61], v[111:112], -v[10:11]
	;; [unrolled: 1-line block ×3, first 2 shown]
	v_fma_f64 v[12:13], v[12:13], v[84:85], v[64:65]
	v_fma_f64 v[62:63], v[84:85], v[105:106], -v[66:67]
	v_fma_f64 v[4:5], v[4:5], v[80:81], v[82:83]
	v_fma_f64 v[8:9], v[8:9], v[88:89], v[86:87]
	v_fma_f64 v[64:65], v[88:89], v[109:110], -v[70:71]
	s_waitcnt lgkmcnt(0)
	v_add_f64 v[16:17], v[127:128], -v[16:17]
	v_add_f64 v[10:11], v[14:15], -v[10:11]
	;; [unrolled: 1-line block ×8, first 2 shown]
	v_fma_f64 v[64:65], v[127:128], 2.0, -v[16:17]
	v_fma_f64 v[4:5], v[14:15], 2.0, -v[10:11]
	;; [unrolled: 1-line block ×8, first 2 shown]
	v_add_f64 v[2:3], v[16:17], -v[6:7]
	v_add_f64 v[0:1], v[66:67], v[10:11]
	v_add_f64 v[6:7], v[64:65], -v[4:5]
	v_add_f64 v[4:5], v[70:71], -v[14:15]
	;; [unrolled: 1-line block ×3, first 2 shown]
	v_add_f64 v[8:9], v[80:81], v[60:61]
	v_add_f64 v[12:13], v[84:85], -v[12:13]
	v_add_f64 v[14:15], v[30:31], -v[62:63]
	v_fma_f64 v[62:63], v[16:17], 2.0, -v[2:3]
	v_fma_f64 v[60:61], v[66:67], 2.0, -v[0:1]
	;; [unrolled: 1-line block ×7, first 2 shown]
	v_mov_b32_e32 v16, s3
	v_add_co_u32_e32 v84, vcc, s2, v98
	v_addc_co_u32_e32 v85, vcc, v16, v99, vcc
	v_lshlrev_b64 v[16:17], 4, v[96:97]
	v_fma_f64 v[82:83], v[30:31], 2.0, -v[14:15]
	v_add_co_u32_e32 v16, vcc, v84, v16
	v_addc_co_u32_e32 v17, vcc, v85, v17, vcc
	v_add_co_u32_e32 v30, vcc, s1, v16
	v_addc_co_u32_e32 v31, vcc, 0, v17, vcc
	global_store_dwordx4 v[30:31], v[68:71], off offset:1536
	s_mov_b32 s2, 0xa000
	v_add_co_u32_e32 v68, vcc, s0, v16
	v_addc_co_u32_e32 v69, vcc, 0, v17, vcc
	global_store_dwordx4 v[68:69], v[12:15], off offset:3072
	s_movk_i32 s3, 0x7000
	v_add_co_u32_e32 v12, vcc, s2, v16
	v_addc_co_u32_e32 v13, vcc, 0, v17, vcc
	global_store_dwordx4 v[16:17], v[80:83], off
	global_store_dwordx4 v[12:13], v[8:11], off offset:512
	global_store_dwordx4 v[16:17], v[64:67], off offset:2304
	;; [unrolled: 1-line block ×3, first 2 shown]
	v_add_co_u32_e32 v8, vcc, s3, v16
	v_lshrrev_b32_e32 v10, 5, v104
	s_mov_b32 s3, 0x97b425f
	v_mul_hi_u32 v10, v10, s3
	v_addc_co_u32_e32 v9, vcc, 0, v17, vcc
	global_store_dwordx4 v[8:9], v[4:7], off offset:1280
	global_store_dwordx4 v[12:13], v[0:3], off offset:2816
	v_mad_u32_u24 v56, v10, s4, v104
	v_lshlrev_b64 v[0:1], 4, v[56:57]
	v_add_co_u32_e32 v0, vcc, v84, v0
	v_addc_co_u32_e32 v1, vcc, v85, v1, vcc
	v_add_co_u32_e32 v2, vcc, s1, v0
	v_addc_co_u32_e32 v3, vcc, 0, v1, vcc
	global_store_dwordx4 v[2:3], v[117:120], off offset:1536
	v_add_co_u32_e32 v2, vcc, s0, v0
	v_addc_co_u32_e32 v3, vcc, 0, v1, vcc
	global_store_dwordx4 v[2:3], v[92:95], off offset:3072
	v_lshrrev_b32_e32 v2, 5, v102
	v_mul_hi_u32 v2, v2, s3
	global_store_dwordx4 v[0:1], v[121:124], off
	v_add_co_u32_e32 v0, vcc, s2, v0
	v_addc_co_u32_e32 v1, vcc, 0, v1, vcc
	v_mad_u32_u24 v56, v2, s4, v102
	global_store_dwordx4 v[0:1], v[76:79], off offset:512
	v_lshlrev_b64 v[0:1], 4, v[56:57]
	v_add_co_u32_e32 v0, vcc, v84, v0
	v_addc_co_u32_e32 v1, vcc, v85, v1, vcc
	v_add_co_u32_e32 v2, vcc, s1, v0
	v_addc_co_u32_e32 v3, vcc, 0, v1, vcc
	global_store_dwordx4 v[2:3], v[26:29], off offset:1536
	v_add_co_u32_e32 v2, vcc, s0, v0
	v_addc_co_u32_e32 v3, vcc, 0, v1, vcc
	global_store_dwordx4 v[2:3], v[22:25], off offset:3072
	v_lshrrev_b32_e32 v2, 5, v58
	v_mul_hi_u32 v2, v2, s3
	global_store_dwordx4 v[0:1], v[72:75], off
	v_add_co_u32_e32 v0, vcc, s2, v0
	v_addc_co_u32_e32 v1, vcc, 0, v1, vcc
	v_mad_u32_u24 v56, v2, s4, v58
	global_store_dwordx4 v[0:1], v[18:21], off offset:512
	;; [unrolled: 16-line block ×3, first 2 shown]
	v_lshlrev_b64 v[0:1], 4, v[56:57]
	v_add_co_u32_e32 v0, vcc, v84, v0
	v_addc_co_u32_e32 v1, vcc, v85, v1, vcc
	v_add_co_u32_e32 v2, vcc, s1, v0
	v_addc_co_u32_e32 v3, vcc, 0, v1, vcc
	global_store_dwordx4 v[2:3], v[40:43], off offset:1536
	v_add_co_u32_e32 v2, vcc, 0x6000, v0
	v_addc_co_u32_e32 v3, vcc, 0, v1, vcc
	global_store_dwordx4 v[0:1], v[44:47], off
	v_add_co_u32_e32 v0, vcc, 0xa000, v0
	v_addc_co_u32_e32 v1, vcc, 0, v1, vcc
	global_store_dwordx4 v[2:3], v[36:39], off offset:3072
	global_store_dwordx4 v[0:1], v[32:35], off offset:512
.LBB0_13:
	s_endpgm
	.section	.rodata,"a",@progbits
	.p2align	6, 0x0
	.amdhsa_kernel fft_rtc_back_len3456_factors_6_6_6_4_4_wgs_144_tpt_144_halfLds_dp_ip_CI_unitstride_sbrr_dirReg
		.amdhsa_group_segment_fixed_size 0
		.amdhsa_private_segment_fixed_size 0
		.amdhsa_kernarg_size 88
		.amdhsa_user_sgpr_count 6
		.amdhsa_user_sgpr_private_segment_buffer 1
		.amdhsa_user_sgpr_dispatch_ptr 0
		.amdhsa_user_sgpr_queue_ptr 0
		.amdhsa_user_sgpr_kernarg_segment_ptr 1
		.amdhsa_user_sgpr_dispatch_id 0
		.amdhsa_user_sgpr_flat_scratch_init 0
		.amdhsa_user_sgpr_private_segment_size 0
		.amdhsa_uses_dynamic_stack 0
		.amdhsa_system_sgpr_private_segment_wavefront_offset 0
		.amdhsa_system_sgpr_workgroup_id_x 1
		.amdhsa_system_sgpr_workgroup_id_y 0
		.amdhsa_system_sgpr_workgroup_id_z 0
		.amdhsa_system_sgpr_workgroup_info 0
		.amdhsa_system_vgpr_workitem_id 0
		.amdhsa_next_free_vgpr 169
		.amdhsa_next_free_sgpr 22
		.amdhsa_reserve_vcc 1
		.amdhsa_reserve_flat_scratch 0
		.amdhsa_float_round_mode_32 0
		.amdhsa_float_round_mode_16_64 0
		.amdhsa_float_denorm_mode_32 3
		.amdhsa_float_denorm_mode_16_64 3
		.amdhsa_dx10_clamp 1
		.amdhsa_ieee_mode 1
		.amdhsa_fp16_overflow 0
		.amdhsa_exception_fp_ieee_invalid_op 0
		.amdhsa_exception_fp_denorm_src 0
		.amdhsa_exception_fp_ieee_div_zero 0
		.amdhsa_exception_fp_ieee_overflow 0
		.amdhsa_exception_fp_ieee_underflow 0
		.amdhsa_exception_fp_ieee_inexact 0
		.amdhsa_exception_int_div_zero 0
	.end_amdhsa_kernel
	.text
.Lfunc_end0:
	.size	fft_rtc_back_len3456_factors_6_6_6_4_4_wgs_144_tpt_144_halfLds_dp_ip_CI_unitstride_sbrr_dirReg, .Lfunc_end0-fft_rtc_back_len3456_factors_6_6_6_4_4_wgs_144_tpt_144_halfLds_dp_ip_CI_unitstride_sbrr_dirReg
                                        ; -- End function
	.section	.AMDGPU.csdata,"",@progbits
; Kernel info:
; codeLenInByte = 14704
; NumSgprs: 26
; NumVgprs: 169
; ScratchSize: 0
; MemoryBound: 1
; FloatMode: 240
; IeeeMode: 1
; LDSByteSize: 0 bytes/workgroup (compile time only)
; SGPRBlocks: 3
; VGPRBlocks: 42
; NumSGPRsForWavesPerEU: 26
; NumVGPRsForWavesPerEU: 169
; Occupancy: 1
; WaveLimiterHint : 1
; COMPUTE_PGM_RSRC2:SCRATCH_EN: 0
; COMPUTE_PGM_RSRC2:USER_SGPR: 6
; COMPUTE_PGM_RSRC2:TRAP_HANDLER: 0
; COMPUTE_PGM_RSRC2:TGID_X_EN: 1
; COMPUTE_PGM_RSRC2:TGID_Y_EN: 0
; COMPUTE_PGM_RSRC2:TGID_Z_EN: 0
; COMPUTE_PGM_RSRC2:TIDIG_COMP_CNT: 0
	.type	__hip_cuid_97e0c73ce4f33dd9,@object ; @__hip_cuid_97e0c73ce4f33dd9
	.section	.bss,"aw",@nobits
	.globl	__hip_cuid_97e0c73ce4f33dd9
__hip_cuid_97e0c73ce4f33dd9:
	.byte	0                               ; 0x0
	.size	__hip_cuid_97e0c73ce4f33dd9, 1

	.ident	"AMD clang version 19.0.0git (https://github.com/RadeonOpenCompute/llvm-project roc-6.4.0 25133 c7fe45cf4b819c5991fe208aaa96edf142730f1d)"
	.section	".note.GNU-stack","",@progbits
	.addrsig
	.addrsig_sym __hip_cuid_97e0c73ce4f33dd9
	.amdgpu_metadata
---
amdhsa.kernels:
  - .args:
      - .actual_access:  read_only
        .address_space:  global
        .offset:         0
        .size:           8
        .value_kind:     global_buffer
      - .offset:         8
        .size:           8
        .value_kind:     by_value
      - .actual_access:  read_only
        .address_space:  global
        .offset:         16
        .size:           8
        .value_kind:     global_buffer
      - .actual_access:  read_only
        .address_space:  global
        .offset:         24
        .size:           8
        .value_kind:     global_buffer
      - .offset:         32
        .size:           8
        .value_kind:     by_value
      - .actual_access:  read_only
        .address_space:  global
        .offset:         40
        .size:           8
        .value_kind:     global_buffer
      - .actual_access:  read_only
        .address_space:  global
        .offset:         48
        .size:           8
        .value_kind:     global_buffer
      - .offset:         56
        .size:           4
        .value_kind:     by_value
      - .actual_access:  read_only
        .address_space:  global
        .offset:         64
        .size:           8
        .value_kind:     global_buffer
      - .actual_access:  read_only
        .address_space:  global
        .offset:         72
        .size:           8
        .value_kind:     global_buffer
      - .address_space:  global
        .offset:         80
        .size:           8
        .value_kind:     global_buffer
    .group_segment_fixed_size: 0
    .kernarg_segment_align: 8
    .kernarg_segment_size: 88
    .language:       OpenCL C
    .language_version:
      - 2
      - 0
    .max_flat_workgroup_size: 144
    .name:           fft_rtc_back_len3456_factors_6_6_6_4_4_wgs_144_tpt_144_halfLds_dp_ip_CI_unitstride_sbrr_dirReg
    .private_segment_fixed_size: 0
    .sgpr_count:     26
    .sgpr_spill_count: 0
    .symbol:         fft_rtc_back_len3456_factors_6_6_6_4_4_wgs_144_tpt_144_halfLds_dp_ip_CI_unitstride_sbrr_dirReg.kd
    .uniform_work_group_size: 1
    .uses_dynamic_stack: false
    .vgpr_count:     169
    .vgpr_spill_count: 0
    .wavefront_size: 64
amdhsa.target:   amdgcn-amd-amdhsa--gfx906
amdhsa.version:
  - 1
  - 2
...

	.end_amdgpu_metadata
